;; amdgpu-corpus repo=ROCm/rocFFT kind=compiled arch=gfx1201 opt=O3
	.text
	.amdgcn_target "amdgcn-amd-amdhsa--gfx1201"
	.amdhsa_code_object_version 6
	.protected	bluestein_single_back_len1870_dim1_dp_op_CI_CI ; -- Begin function bluestein_single_back_len1870_dim1_dp_op_CI_CI
	.globl	bluestein_single_back_len1870_dim1_dp_op_CI_CI
	.p2align	8
	.type	bluestein_single_back_len1870_dim1_dp_op_CI_CI,@function
bluestein_single_back_len1870_dim1_dp_op_CI_CI: ; @bluestein_single_back_len1870_dim1_dp_op_CI_CI
; %bb.0:
	s_load_b128 s[8:11], s[0:1], 0x28
	v_mul_u32_u24_e32 v1, 0x15f, v0
	s_mov_b32 s2, exec_lo
	v_mov_b32_e32 v4, 0
	s_delay_alu instid0(VALU_DEP_2) | instskip(NEXT) | instid1(VALU_DEP_1)
	v_lshrrev_b32_e32 v1, 16, v1
	v_add_nc_u32_e32 v3, ttmp9, v1
	s_delay_alu instid0(VALU_DEP_1)
	v_mov_b32_e32 v2, v3
	scratch_store_b64 off, v[2:3], off      ; 8-byte Folded Spill
	s_wait_kmcnt 0x0
	v_cmpx_gt_u64_e64 s[8:9], v[3:4]
	s_cbranch_execz .LBB0_23
; %bb.1:
	s_clause 0x1
	s_load_b64 s[8:9], s[0:1], 0x0
	s_load_b64 s[12:13], s[0:1], 0x38
	v_mul_lo_u16 v1, 0xbb, v1
	s_delay_alu instid0(VALU_DEP_1) | instskip(NEXT) | instid1(VALU_DEP_1)
	v_sub_nc_u16 v0, v0, v1
	v_and_b32_e32 v168, 0xffff, v0
	v_cmp_gt_u16_e32 vcc_lo, 0x6e, v0
	s_delay_alu instid0(VALU_DEP_2)
	v_lshlrev_b32_e32 v255, 4, v168
	s_and_saveexec_b32 s3, vcc_lo
	s_cbranch_execz .LBB0_3
; %bb.2:
	scratch_load_b64 v[0:1], off, off       ; 8-byte Folded Reload
	s_load_b64 s[4:5], s[0:1], 0x18
	s_wait_kmcnt 0x0
	s_load_b128 s[4:7], s[4:5], 0x0
	s_wait_kmcnt 0x0
	v_mad_co_u64_u32 v[32:33], null, s4, v168, 0
	s_wait_loadcnt 0x0
	s_delay_alu instid0(VALU_DEP_1) | instskip(NEXT) | instid1(VALU_DEP_1)
	v_dual_mov_b32 v1, v33 :: v_dual_mov_b32 v2, v0
	v_mad_co_u64_u32 v[16:17], null, s6, v2, 0
	s_delay_alu instid0(VALU_DEP_1) | instskip(NEXT) | instid1(VALU_DEP_1)
	v_mov_b32_e32 v0, v17
	v_mad_co_u64_u32 v[2:3], null, s7, v2, v[0:1]
	s_delay_alu instid0(VALU_DEP_1)
	v_mov_b32_e32 v17, v2
	v_mad_co_u64_u32 v[18:19], null, s5, v168, v[1:2]
	s_mul_u64 s[4:5], s[4:5], 0x6e0
	s_clause 0x3
	global_load_b128 v[0:3], v255, s[8:9]
	global_load_b128 v[4:7], v255, s[8:9] offset:1760
	global_load_b128 v[8:11], v255, s[8:9] offset:3520
	;; [unrolled: 1-line block ×3, first 2 shown]
	v_lshlrev_b64_e32 v[34:35], 4, v[16:17]
	v_mov_b32_e32 v33, v18
	s_clause 0x3
	global_load_b128 v[16:19], v255, s[8:9] offset:7040
	global_load_b128 v[20:23], v255, s[8:9] offset:8800
	;; [unrolled: 1-line block ×4, first 2 shown]
	v_add_co_u32 v42, s2, s10, v34
	s_delay_alu instid0(VALU_DEP_1)
	v_add_co_ci_u32_e64 v43, s2, s11, v35, s2
	v_lshlrev_b64_e32 v[40:41], 4, v[32:33]
	s_clause 0x1
	global_load_b128 v[32:35], v255, s[8:9] offset:14080
	global_load_b128 v[36:39], v255, s[8:9] offset:15840
	v_add_co_u32 v56, s2, v42, v40
	s_wait_alu 0xf1ff
	v_add_co_ci_u32_e64 v57, s2, v43, v41, s2
	s_clause 0x1
	global_load_b128 v[40:43], v255, s[8:9] offset:17600
	global_load_b128 v[44:47], v255, s[8:9] offset:19360
	s_wait_alu 0xfffe
	v_add_co_u32 v60, s2, v56, s4
	s_wait_alu 0xf1ff
	v_add_co_ci_u32_e64 v61, s2, s5, v57, s2
	s_clause 0x1
	global_load_b128 v[48:51], v255, s[8:9] offset:21120
	global_load_b128 v[52:55], v255, s[8:9] offset:22880
	v_add_co_u32 v64, s2, v60, s4
	s_wait_alu 0xf1ff
	v_add_co_ci_u32_e64 v65, s2, s5, v61, s2
	s_clause 0x1
	global_load_b128 v[56:59], v[56:57], off
	global_load_b128 v[60:63], v[60:61], off
	v_add_co_u32 v68, s2, v64, s4
	s_wait_alu 0xf1ff
	v_add_co_ci_u32_e64 v69, s2, s5, v65, s2
	s_delay_alu instid0(VALU_DEP_2) | instskip(SKIP_1) | instid1(VALU_DEP_2)
	v_add_co_u32 v72, s2, v68, s4
	s_wait_alu 0xf1ff
	v_add_co_ci_u32_e64 v73, s2, s5, v69, s2
	s_clause 0x1
	global_load_b128 v[64:67], v[64:65], off
	global_load_b128 v[68:71], v[68:69], off
	v_add_co_u32 v76, s2, v72, s4
	s_wait_alu 0xf1ff
	v_add_co_ci_u32_e64 v77, s2, s5, v73, s2
	global_load_b128 v[72:75], v[72:73], off
	v_add_co_u32 v80, s2, v76, s4
	s_wait_alu 0xf1ff
	v_add_co_ci_u32_e64 v81, s2, s5, v77, s2
	;; [unrolled: 4-line block ×12, first 2 shown]
	s_clause 0x1
	global_load_b128 v[116:119], v255, s[8:9] offset:24640
	global_load_b128 v[120:123], v255, s[8:9] offset:26400
	global_load_b128 v[124:127], v[124:125], off
	global_load_b128 v[128:131], v255, s[8:9] offset:28160
	global_load_b128 v[132:135], v[132:133], off
	s_wait_loadcnt 0x13
	v_mul_f64_e32 v[136:137], v[58:59], v[2:3]
	v_mul_f64_e32 v[2:3], v[56:57], v[2:3]
	s_wait_loadcnt 0x12
	v_mul_f64_e32 v[138:139], v[62:63], v[6:7]
	v_mul_f64_e32 v[6:7], v[60:61], v[6:7]
	s_wait_loadcnt 0x11
	v_mul_f64_e32 v[140:141], v[66:67], v[10:11]
	v_mul_f64_e32 v[10:11], v[64:65], v[10:11]
	s_wait_loadcnt 0x10
	v_mul_f64_e32 v[142:143], v[70:71], v[14:15]
	v_mul_f64_e32 v[14:15], v[68:69], v[14:15]
	s_wait_loadcnt 0xf
	v_mul_f64_e32 v[144:145], v[74:75], v[18:19]
	v_mul_f64_e32 v[18:19], v[72:73], v[18:19]
	s_wait_loadcnt 0xe
	v_mul_f64_e32 v[146:147], v[78:79], v[22:23]
	v_mul_f64_e32 v[22:23], v[76:77], v[22:23]
	s_wait_loadcnt 0xd
	v_mul_f64_e32 v[148:149], v[82:83], v[26:27]
	v_mul_f64_e32 v[26:27], v[80:81], v[26:27]
	s_wait_loadcnt 0xc
	v_mul_f64_e32 v[150:151], v[86:87], v[30:31]
	v_mul_f64_e32 v[30:31], v[84:85], v[30:31]
	s_wait_loadcnt 0xb
	v_mul_f64_e32 v[152:153], v[90:91], v[34:35]
	v_mul_f64_e32 v[34:35], v[88:89], v[34:35]
	s_wait_loadcnt 0xa
	v_mul_f64_e32 v[154:155], v[94:95], v[38:39]
	v_mul_f64_e32 v[38:39], v[92:93], v[38:39]
	s_wait_loadcnt 0x9
	v_mul_f64_e32 v[156:157], v[98:99], v[42:43]
	v_mul_f64_e32 v[42:43], v[96:97], v[42:43]
	s_wait_loadcnt 0x8
	v_mul_f64_e32 v[158:159], v[102:103], v[46:47]
	v_mul_f64_e32 v[46:47], v[100:101], v[46:47]
	s_wait_loadcnt 0x7
	v_mul_f64_e32 v[160:161], v[106:107], v[50:51]
	v_mul_f64_e32 v[50:51], v[104:105], v[50:51]
	s_wait_loadcnt 0x6
	v_mul_f64_e32 v[162:163], v[110:111], v[54:55]
	v_mul_f64_e32 v[164:165], v[108:109], v[54:55]
	v_fma_f64 v[54:55], v[56:57], v[0:1], v[136:137]
	v_fma_f64 v[56:57], v[58:59], v[0:1], -v[2:3]
	v_fma_f64 v[0:1], v[60:61], v[4:5], v[138:139]
	v_fma_f64 v[2:3], v[62:63], v[4:5], -v[6:7]
	s_wait_loadcnt 0x4
	v_mul_f64_e32 v[166:167], v[114:115], v[118:119]
	v_mul_f64_e32 v[118:119], v[112:113], v[118:119]
	s_wait_loadcnt 0x2
	v_mul_f64_e32 v[169:170], v[126:127], v[122:123]
	v_mul_f64_e32 v[122:123], v[124:125], v[122:123]
	s_wait_loadcnt 0x0
	v_mul_f64_e32 v[171:172], v[134:135], v[130:131]
	v_mul_f64_e32 v[130:131], v[132:133], v[130:131]
	v_fma_f64 v[4:5], v[64:65], v[8:9], v[140:141]
	v_fma_f64 v[6:7], v[66:67], v[8:9], -v[10:11]
	v_fma_f64 v[8:9], v[68:69], v[12:13], v[142:143]
	v_fma_f64 v[10:11], v[70:71], v[12:13], -v[14:15]
	;; [unrolled: 2-line block ×15, first 2 shown]
	ds_store_b128 v255, v[54:57]
	ds_store_b128 v255, v[0:3] offset:1760
	ds_store_b128 v255, v[4:7] offset:3520
	;; [unrolled: 1-line block ×16, first 2 shown]
.LBB0_3:
	s_or_b32 exec_lo, exec_lo, s3
	s_load_b64 s[2:3], s[0:1], 0x20
	global_wb scope:SCOPE_SE
	s_wait_storecnt_dscnt 0x0
	s_wait_kmcnt 0x0
	s_barrier_signal -1
	s_barrier_wait -1
	global_inv scope:SCOPE_SE
                                        ; implicit-def: $vgpr24_vgpr25
                                        ; implicit-def: $vgpr44_vgpr45
                                        ; implicit-def: $vgpr48_vgpr49
                                        ; implicit-def: $vgpr52_vgpr53
                                        ; implicit-def: $vgpr56_vgpr57
                                        ; implicit-def: $vgpr60_vgpr61
                                        ; implicit-def: $vgpr64_vgpr65
                                        ; implicit-def: $vgpr68_vgpr69
                                        ; implicit-def: $vgpr80_vgpr81
                                        ; implicit-def: $vgpr84_vgpr85
                                        ; implicit-def: $vgpr88_vgpr89
                                        ; implicit-def: $vgpr92_vgpr93
                                        ; implicit-def: $vgpr72_vgpr73
                                        ; implicit-def: $vgpr40_vgpr41
                                        ; implicit-def: $vgpr36_vgpr37
                                        ; implicit-def: $vgpr32_vgpr33
                                        ; implicit-def: $vgpr28_vgpr29
	s_and_saveexec_b32 s4, vcc_lo
	s_cbranch_execz .LBB0_5
; %bb.4:
	ds_load_b128 v[24:27], v255
	ds_load_b128 v[44:47], v255 offset:1760
	ds_load_b128 v[48:51], v255 offset:3520
	;; [unrolled: 1-line block ×16, first 2 shown]
.LBB0_5:
	s_wait_alu 0xfffe
	s_or_b32 exec_lo, exec_lo, s4
	s_wait_dscnt 0x0
	v_add_f64_e64 v[128:129], v[46:47], -v[30:31]
	v_add_f64_e64 v[142:143], v[50:51], -v[34:35]
	s_mov_b32 s14, 0x5d8e7cdc
	s_mov_b32 s20, 0x2a9d6da3
	s_mov_b32 s15, 0xbfd71e95
	s_mov_b32 s21, 0xbfe58eea
	v_add_f64_e32 v[124:125], v[44:45], v[28:29]
	v_add_f64_e64 v[156:157], v[48:49], -v[32:33]
	s_mov_b32 s4, 0x370991
	s_mov_b32 s40, 0x4363dd80
	;; [unrolled: 1-line block ×6, first 2 shown]
	v_add_f64_e32 v[96:97], v[48:49], v[32:33]
	s_mov_b32 s6, 0x75d4884
	s_mov_b32 s7, 0x3fe7a5f6
	v_add_f64_e64 v[171:172], v[44:45], -v[28:29]
	v_add_f64_e32 v[164:165], v[46:47], v[30:31]
	v_add_f64_e32 v[100:101], v[50:51], v[34:35]
	v_add_f64_e64 v[162:163], v[54:55], -v[38:39]
	s_mov_b32 s30, 0x7c9e640b
	s_mov_b32 s31, 0xbfeca52d
	v_add_f64_e32 v[104:105], v[52:53], v[36:37]
	s_mov_b32 s16, 0x2b2883cd
	s_mov_b32 s34, 0xeb564b22
	;; [unrolled: 1-line block ×4, first 2 shown]
	v_add_f64_e64 v[169:170], v[52:53], -v[36:37]
	v_add_f64_e32 v[112:113], v[54:55], v[38:39]
	s_mov_b32 s38, 0x6c9a05f6
	s_mov_b32 s39, 0xbfe9895b
	v_add_f64_e64 v[173:174], v[58:59], -v[42:43]
	v_add_f64_e32 v[108:109], v[56:57], v[40:41]
	s_mov_b32 s18, 0x3259b75e
	s_mov_b32 s19, 0x3fb79ee6
	v_add_f64_e64 v[175:176], v[56:57], -v[40:41]
	v_add_f64_e32 v[120:121], v[58:59], v[42:43]
	v_mul_f64_e32 v[0:1], s[14:15], v[128:129]
	v_mul_f64_e32 v[2:3], s[20:21], v[142:143]
	;; [unrolled: 1-line block ×5, first 2 shown]
	s_mov_b32 s44, 0xacd6c6b4
	s_mov_b32 s45, 0xbfc7851a
	v_mul_f64_e32 v[4:5], s[20:21], v[156:157]
	v_mul_f64_e32 v[8:9], s[34:35], v[156:157]
	v_add_f64_e64 v[177:178], v[62:63], -v[74:75]
	v_mul_f64_e32 v[14:15], s[44:45], v[142:143]
	s_mov_b32 s36, 0x923c349f
	s_mov_b32 s37, 0xbfeec746
	v_add_f64_e32 v[116:117], v[60:61], v[72:73]
	s_mov_b32 s22, 0xc61f0d01
	s_mov_b32 s23, 0xbfd183b1
	v_add_f64_e64 v[179:180], v[60:61], -v[72:73]
	v_mul_f64_e32 v[12:13], s[38:39], v[156:157]
	v_add_f64_e32 v[134:135], v[62:63], v[74:75]
	s_mov_b32 s47, 0x3feec746
	s_mov_b32 s46, s36
	v_add_f64_e64 v[181:182], v[66:67], -v[94:95]
	v_mul_f64_e32 v[22:23], s[46:47], v[142:143]
	;; [unrolled: 5-line block ×5, first 2 shown]
	v_add_f64_e32 v[152:153], v[70:71], v[90:91]
	s_clause 0x2
	scratch_store_b64 off, v[2:3], off offset:8
	scratch_store_b64 off, v[0:1], off offset:120
	;; [unrolled: 1-line block ×3, first 2 shown]
	s_wait_alu 0xfffe
	v_fma_f64 v[0:1], v[124:125], s[4:5], v[0:1]
	v_fma_f64 v[2:3], v[96:97], s[6:7], v[2:3]
	v_add_f64_e64 v[203:204], v[82:83], -v[86:87]
	scratch_store_b64 off, v[4:5], off offset:24 ; 8-byte Folded Spill
	v_fma_f64 v[4:5], v[100:101], s[6:7], -v[4:5]
	v_add_f64_e32 v[148:149], v[80:81], v[84:85]
	s_mov_b32 s28, 0x7faef3
	s_mov_b32 s29, 0xbfef7484
	v_add_f64_e64 v[209:210], v[80:81], -v[84:85]
	v_mul_f64_e32 v[76:77], s[46:47], v[156:157]
	v_add_f64_e32 v[158:159], v[82:83], v[86:87]
	v_mul_f64_e32 v[114:115], s[20:21], v[128:129]
	v_mul_f64_e32 v[126:127], s[20:21], v[171:172]
	s_mov_b32 s49, 0x3fd71e95
	s_mov_b32 s48, s14
	v_mul_f64_e32 v[132:133], s[30:31], v[128:129]
	v_mul_f64_e32 v[136:137], s[30:31], v[171:172]
	s_mov_b32 s55, 0x3fc7851a
	s_mov_b32 s54, s44
	;; [unrolled: 1-line block ×4, first 2 shown]
	v_mul_f64_e32 v[140:141], s[34:35], v[128:129]
	v_mul_f64_e32 v[217:218], s[14:15], v[183:184]
	;; [unrolled: 1-line block ×6, first 2 shown]
	s_mov_b32 s57, 0x3fe9895b
	s_mov_b32 s56, s38
	v_mul_f64_e32 v[150:151], s[36:37], v[128:129]
	v_fma_f64 v[18:19], v[96:97], s[26:27], v[18:19]
	v_mul_f64_e32 v[154:155], s[36:37], v[171:172]
	v_mul_f64_e32 v[215:216], s[30:31], v[175:176]
	;; [unrolled: 1-line block ×4, first 2 shown]
	s_mov_b32 s59, 0x3fefdd0d
	s_mov_b32 s58, s34
	v_mul_f64_e32 v[219:220], s[14:15], v[191:192]
	v_add_f64_e32 v[0:1], v[24:25], v[0:1]
	v_mul_f64_e32 v[227:228], s[58:59], v[181:182]
	v_mul_f64_e32 v[102:103], s[58:59], v[183:184]
	;; [unrolled: 1-line block ×27, first 2 shown]
	s_load_b64 s[10:11], s[0:1], 0x8
	scratch_store_b64 off, v[6:7], off offset:256 ; 8-byte Folded Spill
	v_fma_f64 v[6:7], v[96:97], s[18:19], v[6:7]
	scratch_store_b64 off, v[8:9], off offset:280 ; 8-byte Folded Spill
	v_fma_f64 v[8:9], v[100:101], s[18:19], -v[8:9]
	scratch_store_b64 off, v[14:15], off offset:384 ; 8-byte Folded Spill
	v_fma_f64 v[14:15], v[96:97], s[28:29], v[14:15]
	scratch_store_b64 off, v[10:11], off offset:320 ; 8-byte Folded Spill
	v_fma_f64 v[10:11], v[96:97], s[24:25], v[10:11]
	scratch_store_b64 off, v[12:13], off offset:376 ; 8-byte Folded Spill
	v_add_f64_e32 v[0:1], v[2:3], v[0:1]
	v_mul_f64_e32 v[2:3], s[14:15], v[171:172]
	v_fma_f64 v[12:13], v[100:101], s[24:25], -v[12:13]
	scratch_store_b64 off, v[16:17], off offset:448 ; 8-byte Folded Spill
	v_fma_f64 v[16:17], v[100:101], s[28:29], -v[16:17]
	scratch_store_b64 off, v[20:21], off offset:536 ; 8-byte Folded Spill
	;; [unrolled: 2-line block ×3, first 2 shown]
	v_fma_f64 v[22:23], v[96:97], s[22:23], v[22:23]
	scratch_store_b64 off, v[76:77], off offset:640 ; 8-byte Folded Spill
	v_fma_f64 v[76:77], v[100:101], s[22:23], -v[76:77]
	scratch_store_b64 off, v[78:79], off offset:568 ; 8-byte Folded Spill
	v_fma_f64 v[78:79], v[96:97], s[16:17], v[78:79]
	v_fma_f64 v[98:99], v[100:101], s[16:17], -v[213:214]
	scratch_store_b64 off, v[2:3], off offset:248 ; 8-byte Folded Spill
	v_fma_f64 v[2:3], v[164:165], s[4:5], -v[2:3]
	s_delay_alu instid0(VALU_DEP_1) | instskip(NEXT) | instid1(VALU_DEP_1)
	v_add_f64_e32 v[2:3], v[26:27], v[2:3]
	v_add_f64_e32 v[2:3], v[4:5], v[2:3]
	v_mul_f64_e32 v[4:5], s[30:31], v[162:163]
	scratch_store_b64 off, v[4:5], off offset:40 ; 8-byte Folded Spill
	v_fma_f64 v[4:5], v[104:105], s[16:17], v[4:5]
	s_delay_alu instid0(VALU_DEP_1) | instskip(SKIP_3) | instid1(VALU_DEP_1)
	v_add_f64_e32 v[0:1], v[4:5], v[0:1]
	v_mul_f64_e32 v[4:5], s[30:31], v[169:170]
	scratch_store_b64 off, v[4:5], off offset:72 ; 8-byte Folded Spill
	v_fma_f64 v[4:5], v[112:113], s[16:17], -v[4:5]
	v_add_f64_e32 v[2:3], v[4:5], v[2:3]
	v_mul_f64_e32 v[4:5], s[34:35], v[173:174]
	scratch_store_b64 off, v[4:5], off offset:56 ; 8-byte Folded Spill
	v_fma_f64 v[4:5], v[108:109], s[18:19], v[4:5]
	s_delay_alu instid0(VALU_DEP_1) | instskip(SKIP_3) | instid1(VALU_DEP_1)
	v_add_f64_e32 v[0:1], v[4:5], v[0:1]
	v_mul_f64_e32 v[4:5], s[34:35], v[175:176]
	scratch_store_b64 off, v[4:5], off offset:104 ; 8-byte Folded Spill
	v_fma_f64 v[4:5], v[120:121], s[18:19], -v[4:5]
	;; [unrolled: 9-line block ×6, first 2 shown]
	v_add_f64_e32 v[2:3], v[4:5], v[2:3]
	v_fma_f64 v[4:5], v[124:125], s[6:7], v[114:115]
	s_delay_alu instid0(VALU_DEP_1) | instskip(NEXT) | instid1(VALU_DEP_1)
	v_add_f64_e32 v[4:5], v[24:25], v[4:5]
	v_add_f64_e32 v[4:5], v[6:7], v[4:5]
	v_fma_f64 v[6:7], v[164:165], s[6:7], -v[126:127]
	s_delay_alu instid0(VALU_DEP_1) | instskip(NEXT) | instid1(VALU_DEP_1)
	v_add_f64_e32 v[6:7], v[26:27], v[6:7]
	v_add_f64_e32 v[6:7], v[8:9], v[6:7]
	v_mul_f64_e32 v[8:9], s[38:39], v[162:163]
	scratch_store_b64 off, v[8:9], off offset:264 ; 8-byte Folded Spill
	v_fma_f64 v[8:9], v[104:105], s[24:25], v[8:9]
	s_delay_alu instid0(VALU_DEP_1) | instskip(SKIP_3) | instid1(VALU_DEP_1)
	v_add_f64_e32 v[4:5], v[8:9], v[4:5]
	v_mul_f64_e32 v[8:9], s[38:39], v[169:170]
	scratch_store_b64 off, v[8:9], off offset:288 ; 8-byte Folded Spill
	v_fma_f64 v[8:9], v[112:113], s[24:25], -v[8:9]
	v_add_f64_e32 v[6:7], v[8:9], v[6:7]
	v_mul_f64_e32 v[8:9], s[44:45], v[173:174]
	scratch_store_b64 off, v[8:9], off offset:272 ; 8-byte Folded Spill
	v_fma_f64 v[8:9], v[108:109], s[28:29], v[8:9]
	s_delay_alu instid0(VALU_DEP_1) | instskip(SKIP_3) | instid1(VALU_DEP_1)
	v_add_f64_e32 v[4:5], v[8:9], v[4:5]
	v_mul_f64_e32 v[8:9], s[44:45], v[175:176]
	scratch_store_b64 off, v[8:9], off offset:312 ; 8-byte Folded Spill
	v_fma_f64 v[8:9], v[120:121], s[28:29], -v[8:9]
	;; [unrolled: 9-line block ×6, first 2 shown]
	v_add_f64_e32 v[6:7], v[8:9], v[6:7]
	v_fma_f64 v[8:9], v[124:125], s[16:17], v[132:133]
	s_delay_alu instid0(VALU_DEP_1) | instskip(NEXT) | instid1(VALU_DEP_1)
	v_add_f64_e32 v[8:9], v[24:25], v[8:9]
	v_add_f64_e32 v[8:9], v[10:11], v[8:9]
	v_fma_f64 v[10:11], v[164:165], s[16:17], -v[136:137]
	s_delay_alu instid0(VALU_DEP_1) | instskip(NEXT) | instid1(VALU_DEP_1)
	v_add_f64_e32 v[10:11], v[26:27], v[10:11]
	v_add_f64_e32 v[10:11], v[12:13], v[10:11]
	v_mul_f64_e32 v[12:13], s[54:55], v[162:163]
	scratch_store_b64 off, v[12:13], off offset:344 ; 8-byte Folded Spill
	v_fma_f64 v[12:13], v[104:105], s[28:29], v[12:13]
	s_delay_alu instid0(VALU_DEP_1) | instskip(SKIP_3) | instid1(VALU_DEP_1)
	v_add_f64_e32 v[8:9], v[12:13], v[8:9]
	v_mul_f64_e32 v[12:13], s[54:55], v[169:170]
	scratch_store_b64 off, v[12:13], off offset:408 ; 8-byte Folded Spill
	v_fma_f64 v[12:13], v[112:113], s[28:29], -v[12:13]
	v_add_f64_e32 v[10:11], v[12:13], v[10:11]
	v_mul_f64_e32 v[12:13], s[46:47], v[173:174]
	scratch_store_b64 off, v[12:13], off offset:368 ; 8-byte Folded Spill
	v_fma_f64 v[12:13], v[108:109], s[22:23], v[12:13]
	s_delay_alu instid0(VALU_DEP_1) | instskip(SKIP_3) | instid1(VALU_DEP_1)
	v_add_f64_e32 v[8:9], v[12:13], v[8:9]
	v_mul_f64_e32 v[12:13], s[46:47], v[175:176]
	scratch_store_b64 off, v[12:13], off offset:472 ; 8-byte Folded Spill
	v_fma_f64 v[12:13], v[120:121], s[22:23], -v[12:13]
	v_add_f64_e32 v[10:11], v[12:13], v[10:11]
	v_mul_f64_e32 v[12:13], s[52:53], v[177:178]
	scratch_store_b64 off, v[12:13], off offset:464 ; 8-byte Folded Spill
	v_fma_f64 v[12:13], v[116:117], s[6:7], v[12:13]
	s_delay_alu instid0(VALU_DEP_1) | instskip(SKIP_3) | instid1(VALU_DEP_1)
	v_add_f64_e32 v[8:9], v[12:13], v[8:9]
	v_mul_f64_e32 v[12:13], s[52:53], v[179:180]
	scratch_store_b64 off, v[12:13], off offset:592 ; 8-byte Folded Spill
	v_fma_f64 v[12:13], v[134:135], s[6:7], -v[12:13]
	v_add_f64_e32 v[10:11], v[12:13], v[10:11]
	v_mul_f64_e32 v[12:13], s[14:15], v[181:182]
	scratch_store_b64 off, v[12:13], off offset:560 ; 8-byte Folded Spill
	v_fma_f64 v[12:13], v[130:131], s[4:5], v[12:13]
	s_delay_alu instid0(VALU_DEP_1) | instskip(SKIP_1) | instid1(VALU_DEP_1)
	v_add_f64_e32 v[8:9], v[12:13], v[8:9]
	v_fma_f64 v[12:13], v[144:145], s[4:5], -v[217:218]
	v_add_f64_e32 v[10:11], v[12:13], v[10:11]
	v_mul_f64_e32 v[12:13], s[34:35], v[185:186]
	scratch_store_b64 off, v[12:13], off offset:456 ; 8-byte Folded Spill
	v_fma_f64 v[12:13], v[138:139], s[18:19], v[12:13]
	s_delay_alu instid0(VALU_DEP_1) | instskip(SKIP_3) | instid1(VALU_DEP_1)
	v_add_f64_e32 v[8:9], v[12:13], v[8:9]
	v_mul_f64_e32 v[12:13], s[34:35], v[191:192]
	scratch_store_b64 off, v[12:13], off offset:512 ; 8-byte Folded Spill
	v_fma_f64 v[12:13], v[152:153], s[18:19], -v[12:13]
	v_add_f64_e32 v[10:11], v[12:13], v[10:11]
	v_mul_f64_e32 v[12:13], s[40:41], v[203:204]
	scratch_store_b64 off, v[12:13], off offset:440 ; 8-byte Folded Spill
	v_fma_f64 v[12:13], v[148:149], s[26:27], v[12:13]
	s_delay_alu instid0(VALU_DEP_1) | instskip(SKIP_3) | instid1(VALU_DEP_1)
	v_add_f64_e32 v[8:9], v[12:13], v[8:9]
	v_mul_f64_e32 v[12:13], s[40:41], v[209:210]
	scratch_store_b64 off, v[12:13], off offset:504 ; 8-byte Folded Spill
	v_fma_f64 v[12:13], v[158:159], s[26:27], -v[12:13]
	v_add_f64_e32 v[10:11], v[12:13], v[10:11]
	v_fma_f64 v[12:13], v[124:125], s[18:19], v[140:141]
	s_delay_alu instid0(VALU_DEP_1) | instskip(NEXT) | instid1(VALU_DEP_1)
	v_add_f64_e32 v[12:13], v[24:25], v[12:13]
	v_add_f64_e32 v[12:13], v[14:15], v[12:13]
	v_fma_f64 v[14:15], v[164:165], s[18:19], -v[146:147]
	s_delay_alu instid0(VALU_DEP_1) | instskip(NEXT) | instid1(VALU_DEP_1)
	v_add_f64_e32 v[14:15], v[26:27], v[14:15]
	v_add_f64_e32 v[14:15], v[16:17], v[14:15]
	v_mul_f64_e32 v[16:17], s[46:47], v[162:163]
	scratch_store_b64 off, v[16:17], off offset:416 ; 8-byte Folded Spill
	v_fma_f64 v[16:17], v[104:105], s[22:23], v[16:17]
	s_delay_alu instid0(VALU_DEP_1) | instskip(SKIP_3) | instid1(VALU_DEP_1)
	v_add_f64_e32 v[12:13], v[16:17], v[12:13]
	v_mul_f64_e32 v[16:17], s[46:47], v[169:170]
	scratch_store_b64 off, v[16:17], off offset:528 ; 8-byte Folded Spill
	v_fma_f64 v[16:17], v[112:113], s[22:23], -v[16:17]
	v_add_f64_e32 v[14:15], v[16:17], v[14:15]
	v_mul_f64_e32 v[16:17], s[48:49], v[173:174]
	scratch_store_b64 off, v[16:17], off offset:432 ; 8-byte Folded Spill
	v_fma_f64 v[16:17], v[108:109], s[4:5], v[16:17]
	s_delay_alu instid0(VALU_DEP_1) | instskip(SKIP_3) | instid1(VALU_DEP_1)
	v_add_f64_e32 v[12:13], v[16:17], v[12:13]
	v_mul_f64_e32 v[16:17], s[48:49], v[175:176]
	scratch_store_b64 off, v[16:17], off offset:608 ; 8-byte Folded Spill
	v_fma_f64 v[16:17], v[120:121], s[4:5], -v[16:17]
	v_add_f64_e32 v[14:15], v[16:17], v[14:15]
	v_mul_f64_e32 v[16:17], s[30:31], v[177:178]
	scratch_store_b64 off, v[16:17], off offset:552 ; 8-byte Folded Spill
	v_fma_f64 v[16:17], v[116:117], s[16:17], v[16:17]
	s_delay_alu instid0(VALU_DEP_1) | instskip(SKIP_1) | instid1(VALU_DEP_1)
	v_add_f64_e32 v[12:13], v[16:17], v[12:13]
	v_fma_f64 v[16:17], v[134:135], s[16:17], -v[207:208]
	v_add_f64_e32 v[14:15], v[16:17], v[14:15]
	v_fma_f64 v[16:17], v[130:131], s[26:27], v[195:196]
	s_delay_alu instid0(VALU_DEP_1) | instskip(SKIP_1) | instid1(VALU_DEP_1)
	v_add_f64_e32 v[12:13], v[16:17], v[12:13]
	v_fma_f64 v[16:17], v[144:145], s[26:27], -v[233:234]
	v_add_f64_e32 v[14:15], v[16:17], v[14:15]
	v_mul_f64_e32 v[16:17], s[56:57], v[185:186]
	scratch_store_b64 off, v[16:17], off offset:544 ; 8-byte Folded Spill
	v_fma_f64 v[16:17], v[138:139], s[24:25], v[16:17]
	s_delay_alu instid0(VALU_DEP_1) | instskip(SKIP_3) | instid1(VALU_DEP_1)
	v_add_f64_e32 v[12:13], v[16:17], v[12:13]
	v_mul_f64_e32 v[16:17], s[56:57], v[191:192]
	scratch_store_b64 off, v[16:17], off offset:616 ; 8-byte Folded Spill
	v_fma_f64 v[16:17], v[152:153], s[24:25], -v[16:17]
	v_add_f64_e32 v[14:15], v[16:17], v[14:15]
	v_mul_f64_e32 v[16:17], s[52:53], v[203:204]
	scratch_store_b64 off, v[16:17], off offset:520 ; 8-byte Folded Spill
	v_fma_f64 v[16:17], v[148:149], s[6:7], v[16:17]
	s_delay_alu instid0(VALU_DEP_1) | instskip(SKIP_3) | instid1(VALU_DEP_1)
	v_add_f64_e32 v[12:13], v[16:17], v[12:13]
	v_mul_f64_e32 v[16:17], s[52:53], v[209:210]
	scratch_store_b64 off, v[16:17], off offset:600 ; 8-byte Folded Spill
	v_fma_f64 v[16:17], v[158:159], s[6:7], -v[16:17]
	v_add_f64_e32 v[14:15], v[16:17], v[14:15]
	v_fma_f64 v[16:17], v[124:125], s[22:23], v[150:151]
	s_delay_alu instid0(VALU_DEP_1) | instskip(NEXT) | instid1(VALU_DEP_1)
	v_add_f64_e32 v[16:17], v[24:25], v[16:17]
	v_add_f64_e32 v[16:17], v[18:19], v[16:17]
	v_fma_f64 v[18:19], v[164:165], s[22:23], -v[154:155]
	s_delay_alu instid0(VALU_DEP_1) | instskip(NEXT) | instid1(VALU_DEP_1)
	v_add_f64_e32 v[18:19], v[26:27], v[18:19]
	v_add_f64_e32 v[18:19], v[20:21], v[18:19]
	v_mul_f64_e32 v[20:21], s[52:53], v[162:163]
	scratch_store_b64 off, v[20:21], off offset:480 ; 8-byte Folded Spill
	v_fma_f64 v[20:21], v[104:105], s[6:7], v[20:21]
	s_delay_alu instid0(VALU_DEP_1) | instskip(SKIP_3) | instid1(VALU_DEP_1)
	v_add_f64_e32 v[16:17], v[20:21], v[16:17]
	v_mul_f64_e32 v[20:21], s[52:53], v[169:170]
	scratch_store_b64 off, v[20:21], off offset:632 ; 8-byte Folded Spill
	v_fma_f64 v[20:21], v[112:113], s[6:7], -v[20:21]
	v_add_f64_e32 v[18:19], v[20:21], v[18:19]
	v_mul_f64_e32 v[20:21], s[30:31], v[173:174]
	scratch_store_b64 off, v[20:21], off offset:496 ; 8-byte Folded Spill
	v_fma_f64 v[20:21], v[108:109], s[16:17], v[20:21]
	s_delay_alu instid0(VALU_DEP_1) | instskip(SKIP_1) | instid1(VALU_DEP_1)
	v_add_f64_e32 v[16:17], v[20:21], v[16:17]
	v_fma_f64 v[20:21], v[120:121], s[16:17], -v[215:216]
	v_add_f64_e32 v[18:19], v[20:21], v[18:19]
	v_fma_f64 v[20:21], v[116:117], s[28:29], v[199:200]
	s_delay_alu instid0(VALU_DEP_1) | instskip(SKIP_1) | instid1(VALU_DEP_1)
	v_add_f64_e32 v[16:17], v[20:21], v[16:17]
	v_fma_f64 v[20:21], v[134:135], s[28:29], -v[241:242]
	v_add_f64_e32 v[18:19], v[20:21], v[18:19]
	;; [unrolled: 5-line block ×3, first 2 shown]
	v_mul_f64_e32 v[20:21], s[14:15], v[185:186]
	scratch_store_b64 off, v[20:21], off offset:648 ; 8-byte Folded Spill
	v_fma_f64 v[20:21], v[138:139], s[4:5], v[20:21]
	s_delay_alu instid0(VALU_DEP_1) | instskip(SKIP_1) | instid1(VALU_DEP_1)
	v_add_f64_e32 v[16:17], v[20:21], v[16:17]
	v_fma_f64 v[20:21], v[152:153], s[4:5], -v[219:220]
	v_add_f64_e32 v[18:19], v[20:21], v[18:19]
	v_mul_f64_e32 v[20:21], s[38:39], v[203:204]
	scratch_store_b64 off, v[20:21], off offset:624 ; 8-byte Folded Spill
	v_fma_f64 v[20:21], v[148:149], s[24:25], v[20:21]
	s_delay_alu instid0(VALU_DEP_1) | instskip(SKIP_1) | instid1(VALU_DEP_1)
	v_add_f64_e32 v[16:17], v[20:21], v[16:17]
	v_fma_f64 v[20:21], v[158:159], s[24:25], -v[211:212]
	v_add_f64_e32 v[18:19], v[20:21], v[18:19]
	v_fma_f64 v[20:21], v[124:125], s[24:25], v[160:161]
	s_delay_alu instid0(VALU_DEP_1) | instskip(NEXT) | instid1(VALU_DEP_1)
	v_add_f64_e32 v[20:21], v[24:25], v[20:21]
	v_add_f64_e32 v[20:21], v[22:23], v[20:21]
	v_fma_f64 v[22:23], v[164:165], s[24:25], -v[166:167]
	s_delay_alu instid0(VALU_DEP_1) | instskip(NEXT) | instid1(VALU_DEP_1)
	v_add_f64_e32 v[22:23], v[26:27], v[22:23]
	v_add_f64_e32 v[22:23], v[76:77], v[22:23]
	v_mul_f64_e32 v[76:77], s[14:15], v[162:163]
	scratch_store_b64 off, v[76:77], off offset:576 ; 8-byte Folded Spill
	v_fma_f64 v[76:77], v[104:105], s[4:5], v[76:77]
	s_delay_alu instid0(VALU_DEP_1) | instskip(SKIP_1) | instid1(VALU_DEP_1)
	v_add_f64_e32 v[20:21], v[76:77], v[20:21]
	v_fma_f64 v[76:77], v[112:113], s[4:5], -v[223:224]
	v_add_f64_e32 v[22:23], v[76:77], v[22:23]
	v_mul_f64_e32 v[76:77], s[40:41], v[173:174]
	scratch_store_b64 off, v[76:77], off offset:584 ; 8-byte Folded Spill
	v_fma_f64 v[76:77], v[108:109], s[26:27], v[76:77]
	global_wb scope:SCOPE_SE
	s_wait_storecnt 0x0
	s_wait_kmcnt 0x0
	s_barrier_signal -1
	s_barrier_wait -1
	global_inv scope:SCOPE_SE
	v_add_f64_e32 v[20:21], v[76:77], v[20:21]
	v_fma_f64 v[76:77], v[120:121], s[26:27], -v[243:244]
	s_delay_alu instid0(VALU_DEP_1) | instskip(SKIP_1) | instid1(VALU_DEP_1)
	v_add_f64_e32 v[22:23], v[76:77], v[22:23]
	v_fma_f64 v[76:77], v[116:117], s[18:19], v[225:226]
	v_add_f64_e32 v[20:21], v[76:77], v[20:21]
	v_fma_f64 v[76:77], v[134:135], s[18:19], -v[253:254]
	s_delay_alu instid0(VALU_DEP_1) | instskip(SKIP_1) | instid1(VALU_DEP_1)
	v_add_f64_e32 v[22:23], v[76:77], v[22:23]
	v_fma_f64 v[76:77], v[130:131], s[6:7], v[247:248]
	;; [unrolled: 5-line block ×5, first 2 shown]
	v_add_f64_e32 v[76:77], v[24:25], v[76:77]
	s_delay_alu instid0(VALU_DEP_1) | instskip(SKIP_1) | instid1(VALU_DEP_1)
	v_add_f64_e32 v[76:77], v[78:79], v[76:77]
	v_fma_f64 v[78:79], v[164:165], s[26:27], -v[189:190]
	v_add_f64_e32 v[78:79], v[26:27], v[78:79]
	s_delay_alu instid0(VALU_DEP_1) | instskip(SKIP_1) | instid1(VALU_DEP_1)
	v_add_f64_e32 v[78:79], v[98:99], v[78:79]
	v_fma_f64 v[98:99], v[104:105], s[18:19], v[197:198]
	v_add_f64_e32 v[76:77], v[98:99], v[76:77]
	v_fma_f64 v[98:99], v[112:113], s[18:19], -v[239:240]
	s_delay_alu instid0(VALU_DEP_1) | instskip(SKIP_1) | instid1(VALU_DEP_1)
	v_add_f64_e32 v[78:79], v[98:99], v[78:79]
	v_fma_f64 v[98:99], v[108:109], s[24:25], v[201:202]
	v_add_f64_e32 v[76:77], v[98:99], v[76:77]
	v_fma_f64 v[98:99], v[120:121], s[24:25], -v[251:252]
	;; [unrolled: 5-line block ×4, first 2 shown]
	s_delay_alu instid0(VALU_DEP_1) | instskip(SKIP_1) | instid1(VALU_DEP_1)
	v_add_f64_e32 v[78:79], v[98:99], v[78:79]
	v_fma_f64 v[98:99], v[138:139], s[6:7], v[237:238]
	v_add_f64_e32 v[76:77], v[98:99], v[76:77]
	v_mul_f64_e32 v[98:99], s[52:53], v[191:192]
	s_delay_alu instid0(VALU_DEP_1) | instskip(NEXT) | instid1(VALU_DEP_1)
	v_fma_f64 v[229:230], v[152:153], s[6:7], -v[98:99]
	v_add_f64_e32 v[78:79], v[229:230], v[78:79]
	v_mul_f64_e32 v[229:230], s[36:37], v[203:204]
	s_delay_alu instid0(VALU_DEP_1) | instskip(NEXT) | instid1(VALU_DEP_1)
	v_fma_f64 v[249:250], v[148:149], s[22:23], v[229:230]
	v_add_f64_e32 v[76:77], v[249:250], v[76:77]
	v_mul_f64_e32 v[249:250], s[36:37], v[209:210]
	s_delay_alu instid0(VALU_DEP_1) | instskip(NEXT) | instid1(VALU_DEP_1)
	v_fma_f64 v[193:194], v[158:159], s[22:23], -v[249:250]
	v_add_f64_e32 v[78:79], v[193:194], v[78:79]
	s_and_saveexec_b32 s0, vcc_lo
	s_cbranch_execz .LBB0_7
; %bb.6:
	v_add_f64_e32 v[44:45], v[24:25], v[44:45]
	v_add_f64_e32 v[46:47], v[26:27], v[46:47]
	s_delay_alu instid0(VALU_DEP_2) | instskip(NEXT) | instid1(VALU_DEP_2)
	v_add_f64_e32 v[44:45], v[44:45], v[48:49]
	v_add_f64_e32 v[46:47], v[46:47], v[50:51]
	v_mul_f64_e32 v[48:49], s[18:19], v[164:165]
	v_mul_f64_e32 v[50:51], s[18:19], v[124:125]
	s_delay_alu instid0(VALU_DEP_4) | instskip(NEXT) | instid1(VALU_DEP_4)
	v_add_f64_e32 v[44:45], v[44:45], v[52:53]
	v_add_f64_e32 v[46:47], v[46:47], v[54:55]
	s_delay_alu instid0(VALU_DEP_4)
	v_add_f64_e32 v[48:49], v[146:147], v[48:49]
	v_mul_f64_e32 v[54:55], s[16:17], v[124:125]
	v_add_f64_e64 v[50:51], v[50:51], -v[140:141]
	v_mul_f64_e32 v[52:53], s[16:17], v[164:165]
	v_add_f64_e32 v[44:45], v[44:45], v[56:57]
	v_add_f64_e32 v[46:47], v[46:47], v[58:59]
	v_mul_f64_e32 v[58:59], s[6:7], v[124:125]
	v_add_f64_e64 v[54:55], v[54:55], -v[132:133]
	v_mul_f64_e32 v[56:57], s[6:7], v[164:165]
	v_add_f64_e32 v[52:53], v[136:137], v[52:53]
	v_add_f64_e32 v[44:45], v[44:45], v[60:61]
	v_add_f64_e32 v[46:47], v[46:47], v[62:63]
	scratch_load_b64 v[62:63], off, off offset:248 th:TH_LOAD_LU ; 8-byte Folded Reload
	v_mul_f64_e32 v[60:61], s[4:5], v[164:165]
	v_add_f64_e64 v[58:59], v[58:59], -v[114:115]
	v_add_f64_e32 v[56:57], v[126:127], v[56:57]
	v_mul_f64_e32 v[114:115], s[18:19], v[158:159]
	v_add_f64_e32 v[44:45], v[44:45], v[64:65]
	v_add_f64_e32 v[46:47], v[46:47], v[66:67]
	v_mul_f64_e32 v[66:67], s[4:5], v[124:125]
	s_delay_alu instid0(VALU_DEP_3) | instskip(SKIP_3) | instid1(VALU_DEP_2)
	v_add_f64_e32 v[44:45], v[44:45], v[68:69]
	scratch_load_b64 v[68:69], off, off offset:120 th:TH_LOAD_LU ; 8-byte Folded Reload
	v_add_f64_e32 v[46:47], v[46:47], v[70:71]
	v_add_f64_e32 v[44:45], v[44:45], v[80:81]
	v_add_f64_e32 v[46:47], v[46:47], v[82:83]
	s_delay_alu instid0(VALU_DEP_2) | instskip(NEXT) | instid1(VALU_DEP_2)
	v_add_f64_e32 v[44:45], v[44:45], v[84:85]
	v_add_f64_e32 v[46:47], v[46:47], v[86:87]
	s_delay_alu instid0(VALU_DEP_2) | instskip(NEXT) | instid1(VALU_DEP_2)
	v_add_f64_e32 v[44:45], v[44:45], v[88:89]
	v_add_f64_e32 v[46:47], v[46:47], v[90:91]
	;; [unrolled: 3-line block ×3, first 2 shown]
	v_mul_f64_e32 v[94:95], s[58:59], v[203:204]
	s_delay_alu instid0(VALU_DEP_3) | instskip(NEXT) | instid1(VALU_DEP_3)
	v_add_f64_e32 v[44:45], v[44:45], v[72:73]
	v_add_f64_e32 v[46:47], v[46:47], v[74:75]
	s_delay_alu instid0(VALU_DEP_2) | instskip(SKIP_1) | instid1(VALU_DEP_3)
	v_add_f64_e32 v[40:41], v[44:45], v[40:41]
	v_mul_f64_e32 v[44:45], s[22:23], v[164:165]
	v_add_f64_e32 v[42:43], v[46:47], v[42:43]
	v_mul_f64_e32 v[46:47], s[22:23], v[124:125]
	s_wait_loadcnt 0x1
	v_add_f64_e32 v[60:61], v[62:63], v[60:61]
	v_mul_f64_e32 v[62:63], s[44:45], v[128:129]
	v_add_f64_e32 v[36:37], v[40:41], v[36:37]
	v_add_f64_e32 v[44:45], v[154:155], v[44:45]
	;; [unrolled: 1-line block ×3, first 2 shown]
	v_mul_f64_e32 v[42:43], s[24:25], v[124:125]
	v_mul_f64_e32 v[40:41], s[24:25], v[164:165]
	v_add_f64_e64 v[46:47], v[46:47], -v[150:151]
	v_add_f64_e32 v[60:61], v[26:27], v[60:61]
	v_fma_f64 v[64:65], v[124:125], s[28:29], v[62:63]
	v_fma_f64 v[62:63], v[124:125], s[28:29], -v[62:63]
	v_add_f64_e32 v[32:33], v[36:37], v[32:33]
	v_add_f64_e32 v[80:81], v[26:27], v[44:45]
	;; [unrolled: 1-line block ×3, first 2 shown]
	v_mul_f64_e32 v[38:39], s[26:27], v[124:125]
	v_add_f64_e64 v[42:43], v[42:43], -v[160:161]
	v_add_f64_e32 v[44:45], v[26:27], v[48:49]
	v_mul_f64_e32 v[48:49], s[4:5], v[100:101]
	v_mul_f64_e32 v[36:37], s[26:27], v[164:165]
	v_add_f64_e32 v[40:41], v[166:167], v[40:41]
	v_add_f64_e32 v[82:83], v[24:25], v[46:47]
	;; [unrolled: 1-line block ×3, first 2 shown]
	v_mul_f64_e32 v[50:51], s[26:27], v[112:113]
	s_wait_loadcnt 0x0
	v_add_f64_e64 v[66:67], v[66:67], -v[68:69]
	v_add_f64_e32 v[64:65], v[24:25], v[64:65]
	v_add_f64_e32 v[62:63], v[24:25], v[62:63]
	;; [unrolled: 1-line block ×3, first 2 shown]
	v_mul_f64_e32 v[32:33], s[28:29], v[164:165]
	v_add_f64_e32 v[30:31], v[34:35], v[30:31]
	v_add_f64_e64 v[38:39], v[38:39], -v[187:188]
	v_add_f64_e32 v[74:75], v[24:25], v[42:43]
	v_add_f64_e32 v[42:43], v[24:25], v[54:55]
	;; [unrolled: 1-line block ×5, first 2 shown]
	v_fma_f64 v[52:53], v[169:170], s[50:51], v[50:51]
	v_fma_f64 v[50:51], v[169:170], s[40:41], v[50:51]
	v_add_f64_e32 v[66:67], v[24:25], v[66:67]
	v_fma_f64 v[34:35], v[171:172], s[54:55], v[32:33]
	v_fma_f64 v[32:33], v[171:172], s[44:45], v[32:33]
	v_add_f64_e32 v[70:71], v[24:25], v[38:39]
	v_add_f64_e32 v[38:39], v[24:25], v[58:59]
	v_fma_f64 v[24:25], v[156:157], s[14:15], v[48:49]
	v_fma_f64 v[48:49], v[156:157], s[48:49], v[48:49]
	v_add_f64_e32 v[68:69], v[26:27], v[36:37]
	v_add_f64_e32 v[36:37], v[26:27], v[56:57]
	;; [unrolled: 1-line block ×4, first 2 shown]
	s_delay_alu instid0(VALU_DEP_2) | instskip(SKIP_1) | instid1(VALU_DEP_3)
	v_add_f64_e32 v[24:25], v[24:25], v[34:35]
	v_mul_f64_e32 v[34:35], s[48:49], v[142:143]
	v_add_f64_e32 v[32:33], v[48:49], v[32:33]
	s_delay_alu instid0(VALU_DEP_3) | instskip(NEXT) | instid1(VALU_DEP_3)
	v_add_f64_e32 v[24:25], v[52:53], v[24:25]
	v_fma_f64 v[26:27], v[96:97], s[4:5], v[34:35]
	v_mul_f64_e32 v[52:53], s[40:41], v[162:163]
	v_fma_f64 v[34:35], v[96:97], s[4:5], -v[34:35]
	v_add_f64_e32 v[32:33], v[50:51], v[32:33]
	v_fma_f64 v[50:51], v[148:149], s[18:19], -v[94:95]
	v_add_f64_e32 v[26:27], v[26:27], v[64:65]
	v_fma_f64 v[54:55], v[104:105], s[26:27], v[52:53]
	v_add_f64_e32 v[34:35], v[34:35], v[62:63]
	v_fma_f64 v[48:49], v[104:105], s[26:27], -v[52:53]
	s_clause 0x1
	scratch_load_b64 v[52:53], off, off offset:352 th:TH_LOAD_LU
	scratch_load_b64 v[62:63], off, off offset:336 th:TH_LOAD_LU
	v_add_f64_e32 v[26:27], v[54:55], v[26:27]
	v_mul_f64_e32 v[54:55], s[6:7], v[120:121]
	v_add_f64_e32 v[34:35], v[48:49], v[34:35]
	s_delay_alu instid0(VALU_DEP_2) | instskip(SKIP_1) | instid1(VALU_DEP_2)
	v_fma_f64 v[56:57], v[175:176], s[20:21], v[54:55]
	v_fma_f64 v[54:55], v[175:176], s[52:53], v[54:55]
	v_add_f64_e32 v[24:25], v[56:57], v[24:25]
	v_mul_f64_e32 v[56:57], s[52:53], v[173:174]
	s_delay_alu instid0(VALU_DEP_3)
	v_add_f64_e32 v[32:33], v[54:55], v[32:33]
	scratch_load_b64 v[54:55], off, off offset:312 th:TH_LOAD_LU ; 8-byte Folded Reload
	v_fma_f64 v[58:59], v[108:109], s[6:7], v[56:57]
	v_fma_f64 v[48:49], v[108:109], s[6:7], -v[56:57]
	scratch_load_b64 v[56:57], off, off offset:288 th:TH_LOAD_LU ; 8-byte Folded Reload
	v_add_f64_e32 v[26:27], v[58:59], v[26:27]
	v_mul_f64_e32 v[58:59], s[24:25], v[134:135]
	v_add_f64_e32 v[34:35], v[48:49], v[34:35]
	s_delay_alu instid0(VALU_DEP_2) | instskip(SKIP_1) | instid1(VALU_DEP_2)
	v_fma_f64 v[64:65], v[179:180], s[56:57], v[58:59]
	v_fma_f64 v[58:59], v[179:180], s[38:39], v[58:59]
	v_add_f64_e32 v[24:25], v[64:65], v[24:25]
	v_mul_f64_e32 v[64:65], s[38:39], v[177:178]
	s_delay_alu instid0(VALU_DEP_3)
	v_add_f64_e32 v[32:33], v[58:59], v[32:33]
	scratch_load_b64 v[58:59], off, off offset:280 th:TH_LOAD_LU ; 8-byte Folded Reload
	v_fma_f64 v[84:85], v[116:117], s[24:25], v[64:65]
	v_fma_f64 v[48:49], v[116:117], s[24:25], -v[64:65]
	scratch_load_b64 v[64:65], off, off offset:296 th:TH_LOAD_LU ; 8-byte Folded Reload
	;; [unrolled: 14-line block ×3, first 2 shown]
	v_add_f64_e32 v[26:27], v[88:89], v[26:27]
	v_mul_f64_e32 v[88:89], s[22:23], v[152:153]
	v_add_f64_e32 v[34:35], v[48:49], v[34:35]
	s_delay_alu instid0(VALU_DEP_2) | instskip(SKIP_1) | instid1(VALU_DEP_2)
	v_fma_f64 v[90:91], v[191:192], s[46:47], v[88:89]
	v_fma_f64 v[88:89], v[191:192], s[36:37], v[88:89]
	v_add_f64_e32 v[24:25], v[90:91], v[24:25]
	v_mul_f64_e32 v[90:91], s[36:37], v[185:186]
	s_delay_alu instid0(VALU_DEP_3) | instskip(NEXT) | instid1(VALU_DEP_2)
	v_add_f64_e32 v[32:33], v[88:89], v[32:33]
	v_fma_f64 v[92:93], v[138:139], s[22:23], v[90:91]
	v_fma_f64 v[48:49], v[138:139], s[22:23], -v[90:91]
	s_delay_alu instid0(VALU_DEP_2) | instskip(SKIP_1) | instid1(VALU_DEP_3)
	v_add_f64_e32 v[92:93], v[92:93], v[26:27]
	v_fma_f64 v[26:27], v[209:210], s[34:35], v[114:115]
	v_add_f64_e32 v[48:49], v[48:49], v[34:35]
	s_delay_alu instid0(VALU_DEP_2) | instskip(SKIP_1) | instid1(VALU_DEP_1)
	v_add_f64_e32 v[26:27], v[26:27], v[24:25]
	v_fma_f64 v[24:25], v[148:149], s[18:19], v[94:95]
	v_add_f64_e32 v[24:25], v[24:25], v[92:93]
	v_fma_f64 v[92:93], v[209:210], s[58:59], v[114:115]
	s_delay_alu instid0(VALU_DEP_1) | instskip(SKIP_4) | instid1(VALU_DEP_1)
	v_add_f64_e32 v[34:35], v[92:93], v[32:33]
	v_add_f64_e32 v[32:33], v[50:51], v[48:49]
	scratch_load_b64 v[50:51], off, off offset:400 th:TH_LOAD_LU ; 8-byte Folded Reload
	v_mul_f64_e32 v[48:49], s[22:23], v[144:145]
	s_wait_loadcnt 0x0
	v_add_f64_e32 v[48:49], v[50:51], v[48:49]
	v_mul_f64_e32 v[50:51], s[26:27], v[134:135]
	s_delay_alu instid0(VALU_DEP_1) | instskip(SKIP_1) | instid1(VALU_DEP_1)
	v_add_f64_e32 v[50:51], v[52:53], v[50:51]
	v_mul_f64_e32 v[52:53], s[28:29], v[120:121]
	v_add_f64_e32 v[52:53], v[54:55], v[52:53]
	v_mul_f64_e32 v[54:55], s[24:25], v[112:113]
	s_delay_alu instid0(VALU_DEP_1) | instskip(SKIP_1) | instid1(VALU_DEP_1)
	v_add_f64_e32 v[54:55], v[56:57], v[54:55]
	v_mul_f64_e32 v[56:57], s[18:19], v[100:101]
	v_add_f64_e32 v[56:57], v[58:59], v[56:57]
	v_mul_f64_e32 v[58:59], s[22:23], v[130:131]
	s_delay_alu instid0(VALU_DEP_2) | instskip(NEXT) | instid1(VALU_DEP_2)
	v_add_f64_e32 v[36:37], v[56:57], v[36:37]
	v_add_f64_e64 v[58:59], v[58:59], -v[62:63]
	v_mul_f64_e32 v[62:63], s[26:27], v[116:117]
	v_mul_f64_e32 v[56:57], s[28:29], v[108:109]
	s_delay_alu instid0(VALU_DEP_4) | instskip(SKIP_1) | instid1(VALU_DEP_4)
	v_add_f64_e32 v[36:37], v[54:55], v[36:37]
	v_mul_f64_e32 v[54:55], s[16:17], v[152:153]
	v_add_f64_e64 v[62:63], v[62:63], -v[64:65]
	v_mul_f64_e32 v[64:65], s[18:19], v[96:97]
	s_delay_alu instid0(VALU_DEP_4) | instskip(SKIP_1) | instid1(VALU_DEP_3)
	v_add_f64_e32 v[36:37], v[52:53], v[36:37]
	v_mul_f64_e32 v[52:53], s[16:17], v[138:139]
	v_add_f64_e64 v[64:65], v[64:65], -v[84:85]
	v_mul_f64_e32 v[84:85], s[24:25], v[104:105]
	s_delay_alu instid0(VALU_DEP_4) | instskip(SKIP_1) | instid1(VALU_DEP_4)
	v_add_f64_e32 v[36:37], v[50:51], v[36:37]
	v_mul_f64_e32 v[50:51], s[4:5], v[158:159]
	v_add_f64_e32 v[38:39], v[64:65], v[38:39]
	scratch_load_b64 v[64:65], off, off offset:272 th:TH_LOAD_LU ; 8-byte Folded Reload
	v_add_f64_e64 v[84:85], v[84:85], -v[86:87]
	v_add_f64_e32 v[36:37], v[48:49], v[36:37]
	v_mul_f64_e32 v[48:49], s[4:5], v[148:149]
	s_delay_alu instid0(VALU_DEP_3)
	v_add_f64_e32 v[38:39], v[84:85], v[38:39]
	scratch_load_b64 v[84:85], off, off offset:320 th:TH_LOAD_LU ; 8-byte Folded Reload
	s_wait_loadcnt 0x1
	v_add_f64_e64 v[56:57], v[56:57], -v[64:65]
	scratch_load_b64 v[64:65], off, off offset:360 th:TH_LOAD_LU ; 8-byte Folded Reload
	v_add_f64_e32 v[38:39], v[56:57], v[38:39]
	scratch_load_b64 v[56:57], off, off offset:304 th:TH_LOAD_LU ; 8-byte Folded Reload
	v_add_f64_e32 v[38:39], v[62:63], v[38:39]
	s_clause 0x1
	scratch_load_b64 v[62:63], off, off offset:560 th:TH_LOAD_LU
	scratch_load_b64 v[86:87], off, off offset:344 th:TH_LOAD_LU
	v_add_f64_e32 v[38:39], v[58:59], v[38:39]
	scratch_load_b64 v[58:59], off, off offset:376 th:TH_LOAD_LU ; 8-byte Folded Reload
	s_wait_loadcnt 0x3
	v_add_f64_e64 v[52:53], v[52:53], -v[56:57]
	scratch_load_b64 v[56:57], off, off offset:392 th:TH_LOAD_LU ; 8-byte Folded Reload
	v_add_f64_e32 v[52:53], v[52:53], v[38:39]
	s_wait_loadcnt 0x0
	v_add_f64_e32 v[50:51], v[56:57], v[50:51]
	scratch_load_b64 v[56:57], off, off offset:328 th:TH_LOAD_LU ; 8-byte Folded Reload
	v_add_f64_e32 v[54:55], v[64:65], v[54:55]
	scratch_load_b64 v[64:65], off, off offset:464 th:TH_LOAD_LU ; 8-byte Folded Reload
	;; [unrolled: 2-line block ×3, first 2 shown]
	v_add_f64_e32 v[38:39], v[50:51], v[36:37]
	v_mul_f64_e32 v[50:51], s[6:7], v[134:135]
	s_wait_loadcnt 0x2
	v_add_f64_e64 v[48:49], v[48:49], -v[56:57]
	scratch_load_b64 v[56:57], off, off offset:408 th:TH_LOAD_LU ; 8-byte Folded Reload
	v_add_f64_e32 v[36:37], v[48:49], v[52:53]
	scratch_load_b64 v[52:53], off, off offset:592 th:TH_LOAD_LU ; 8-byte Folded Reload
	v_mul_f64_e32 v[48:49], s[4:5], v[144:145]
	s_delay_alu instid0(VALU_DEP_1) | instskip(SKIP_3) | instid1(VALU_DEP_1)
	v_add_f64_e32 v[48:49], v[217:218], v[48:49]
	s_wait_loadcnt 0x0
	v_add_f64_e32 v[50:51], v[52:53], v[50:51]
	v_mul_f64_e32 v[52:53], s[22:23], v[120:121]
	v_add_f64_e32 v[52:53], v[54:55], v[52:53]
	v_mul_f64_e32 v[54:55], s[28:29], v[112:113]
	s_delay_alu instid0(VALU_DEP_1) | instskip(SKIP_1) | instid1(VALU_DEP_1)
	v_add_f64_e32 v[54:55], v[56:57], v[54:55]
	v_mul_f64_e32 v[56:57], s[24:25], v[100:101]
	v_add_f64_e32 v[56:57], v[58:59], v[56:57]
	v_mul_f64_e32 v[58:59], s[4:5], v[130:131]
	s_delay_alu instid0(VALU_DEP_2) | instskip(NEXT) | instid1(VALU_DEP_2)
	v_add_f64_e32 v[40:41], v[56:57], v[40:41]
	v_add_f64_e64 v[58:59], v[58:59], -v[62:63]
	v_mul_f64_e32 v[62:63], s[6:7], v[116:117]
	v_mul_f64_e32 v[56:57], s[22:23], v[108:109]
	s_delay_alu instid0(VALU_DEP_4) | instskip(SKIP_1) | instid1(VALU_DEP_4)
	v_add_f64_e32 v[40:41], v[54:55], v[40:41]
	v_mul_f64_e32 v[54:55], s[18:19], v[152:153]
	v_add_f64_e64 v[62:63], v[62:63], -v[64:65]
	v_mul_f64_e32 v[64:65], s[24:25], v[96:97]
	s_delay_alu instid0(VALU_DEP_4) | instskip(SKIP_1) | instid1(VALU_DEP_3)
	v_add_f64_e32 v[40:41], v[52:53], v[40:41]
	v_mul_f64_e32 v[52:53], s[18:19], v[138:139]
	v_add_f64_e64 v[64:65], v[64:65], -v[84:85]
	v_mul_f64_e32 v[84:85], s[28:29], v[104:105]
	s_delay_alu instid0(VALU_DEP_4) | instskip(SKIP_1) | instid1(VALU_DEP_4)
	v_add_f64_e32 v[40:41], v[50:51], v[40:41]
	v_mul_f64_e32 v[50:51], s[26:27], v[158:159]
	v_add_f64_e32 v[42:43], v[64:65], v[42:43]
	scratch_load_b64 v[64:65], off, off offset:368 th:TH_LOAD_LU ; 8-byte Folded Reload
	v_add_f64_e64 v[84:85], v[84:85], -v[86:87]
	scratch_load_b64 v[86:87], off, off offset:416 th:TH_LOAD_LU ; 8-byte Folded Reload
	v_add_f64_e32 v[40:41], v[48:49], v[40:41]
	v_mul_f64_e32 v[48:49], s[26:27], v[148:149]
	v_add_f64_e32 v[42:43], v[84:85], v[42:43]
	scratch_load_b64 v[84:85], off, off offset:384 th:TH_LOAD_LU ; 8-byte Folded Reload
	s_wait_loadcnt 0x2
	v_add_f64_e64 v[56:57], v[56:57], -v[64:65]
	scratch_load_b64 v[64:65], off, off offset:512 th:TH_LOAD_LU ; 8-byte Folded Reload
	v_add_f64_e32 v[42:43], v[56:57], v[42:43]
	scratch_load_b64 v[56:57], off, off offset:456 th:TH_LOAD_LU ; 8-byte Folded Reload
	v_add_f64_e32 v[42:43], v[62:63], v[42:43]
	v_mul_f64_e32 v[62:63], s[16:17], v[116:117]
	s_delay_alu instid0(VALU_DEP_2)
	v_add_f64_e32 v[42:43], v[58:59], v[42:43]
	scratch_load_b64 v[58:59], off, off offset:448 th:TH_LOAD_LU ; 8-byte Folded Reload
	s_wait_loadcnt 0x2
	v_add_f64_e32 v[54:55], v[64:65], v[54:55]
	scratch_load_b64 v[64:65], off, off offset:552 th:TH_LOAD_LU ; 8-byte Folded Reload
	v_add_f64_e32 v[40:41], v[54:55], v[40:41]
	scratch_load_b64 v[54:55], off, off offset:608 th:TH_LOAD_LU ; 8-byte Folded Reload
	s_wait_loadcnt 0x1
	v_add_f64_e64 v[62:63], v[62:63], -v[64:65]
	v_mul_f64_e32 v[64:65], s[28:29], v[96:97]
	s_delay_alu instid0(VALU_DEP_1) | instskip(SKIP_1) | instid1(VALU_DEP_2)
	v_add_f64_e64 v[64:65], v[64:65], -v[84:85]
	v_mul_f64_e32 v[84:85], s[22:23], v[104:105]
	v_add_f64_e32 v[46:47], v[64:65], v[46:47]
	s_delay_alu instid0(VALU_DEP_2)
	v_add_f64_e64 v[84:85], v[84:85], -v[86:87]
	scratch_load_b64 v[86:87], off, off offset:480 th:TH_LOAD_LU ; 8-byte Folded Reload
	v_add_f64_e64 v[52:53], v[52:53], -v[56:57]
	s_clause 0x1
	scratch_load_b64 v[56:57], off, off offset:504 th:TH_LOAD_LU
	scratch_load_b64 v[64:65], off, off offset:432 th:TH_LOAD_LU
	v_add_f64_e32 v[46:47], v[84:85], v[46:47]
	scratch_load_b64 v[84:85], off, off offset:424 th:TH_LOAD_LU ; 8-byte Folded Reload
	v_add_f64_e32 v[52:53], v[52:53], v[42:43]
	s_wait_loadcnt 0x2
	v_add_f64_e32 v[50:51], v[56:57], v[50:51]
	scratch_load_b64 v[56:57], off, off offset:440 th:TH_LOAD_LU ; 8-byte Folded Reload
	v_add_f64_e32 v[42:43], v[50:51], v[40:41]
	v_mul_f64_e32 v[50:51], s[16:17], v[134:135]
	s_delay_alu instid0(VALU_DEP_1)
	v_add_f64_e32 v[50:51], v[207:208], v[50:51]
	s_wait_loadcnt 0x0
	v_add_f64_e64 v[48:49], v[48:49], -v[56:57]
	scratch_load_b64 v[56:57], off, off offset:528 th:TH_LOAD_LU ; 8-byte Folded Reload
	v_add_f64_e32 v[40:41], v[48:49], v[52:53]
	v_mul_f64_e32 v[52:53], s[4:5], v[120:121]
	v_mul_f64_e32 v[48:49], s[26:27], v[144:145]
	s_delay_alu instid0(VALU_DEP_2) | instskip(SKIP_1) | instid1(VALU_DEP_3)
	v_add_f64_e32 v[52:53], v[54:55], v[52:53]
	v_mul_f64_e32 v[54:55], s[22:23], v[112:113]
	v_add_f64_e32 v[48:49], v[233:234], v[48:49]
	s_wait_loadcnt 0x0
	s_delay_alu instid0(VALU_DEP_2) | instskip(SKIP_1) | instid1(VALU_DEP_1)
	v_add_f64_e32 v[54:55], v[56:57], v[54:55]
	v_mul_f64_e32 v[56:57], s[28:29], v[100:101]
	v_add_f64_e32 v[56:57], v[58:59], v[56:57]
	v_mul_f64_e32 v[58:59], s[26:27], v[130:131]
	s_delay_alu instid0(VALU_DEP_2) | instskip(SKIP_1) | instid1(VALU_DEP_3)
	v_add_f64_e32 v[44:45], v[56:57], v[44:45]
	v_mul_f64_e32 v[56:57], s[4:5], v[108:109]
	v_add_f64_e64 v[58:59], v[58:59], -v[195:196]
	s_delay_alu instid0(VALU_DEP_3) | instskip(NEXT) | instid1(VALU_DEP_3)
	v_add_f64_e32 v[44:45], v[54:55], v[44:45]
	v_add_f64_e64 v[56:57], v[56:57], -v[64:65]
	scratch_load_b64 v[64:65], off, off offset:616 th:TH_LOAD_LU ; 8-byte Folded Reload
	v_mul_f64_e32 v[54:55], s[24:25], v[152:153]
	v_add_f64_e32 v[44:45], v[52:53], v[44:45]
	v_add_f64_e32 v[46:47], v[56:57], v[46:47]
	scratch_load_b64 v[56:57], off, off offset:544 th:TH_LOAD_LU ; 8-byte Folded Reload
	v_mul_f64_e32 v[52:53], s[24:25], v[138:139]
	v_add_f64_e32 v[44:45], v[50:51], v[44:45]
	v_mul_f64_e32 v[50:51], s[6:7], v[158:159]
	v_add_f64_e32 v[46:47], v[62:63], v[46:47]
	v_mul_f64_e32 v[62:63], s[28:29], v[116:117]
	s_delay_alu instid0(VALU_DEP_4) | instskip(SKIP_1) | instid1(VALU_DEP_4)
	v_add_f64_e32 v[44:45], v[48:49], v[44:45]
	v_mul_f64_e32 v[48:49], s[6:7], v[148:149]
	v_add_f64_e32 v[46:47], v[58:59], v[46:47]
	s_delay_alu instid0(VALU_DEP_4) | instskip(SKIP_4) | instid1(VALU_DEP_2)
	v_add_f64_e64 v[62:63], v[62:63], -v[199:200]
	scratch_load_b64 v[58:59], off, off offset:536 th:TH_LOAD_LU ; 8-byte Folded Reload
	s_wait_loadcnt 0x2
	v_add_f64_e32 v[54:55], v[64:65], v[54:55]
	v_mul_f64_e32 v[64:65], s[26:27], v[96:97]
	v_add_f64_e32 v[44:45], v[54:55], v[44:45]
	s_delay_alu instid0(VALU_DEP_2) | instskip(SKIP_2) | instid1(VALU_DEP_3)
	v_add_f64_e64 v[64:65], v[64:65], -v[84:85]
	v_mul_f64_e32 v[84:85], s[6:7], v[104:105]
	v_mul_f64_e32 v[54:55], s[6:7], v[112:113]
	v_add_f64_e32 v[64:65], v[64:65], v[82:83]
	s_delay_alu instid0(VALU_DEP_3)
	v_add_f64_e64 v[84:85], v[84:85], -v[86:87]
	scratch_load_b64 v[86:87], off, off offset:576 th:TH_LOAD_LU ; 8-byte Folded Reload
	s_wait_loadcnt 0x2
	v_add_f64_e64 v[52:53], v[52:53], -v[56:57]
	s_clause 0x1
	scratch_load_b64 v[56:57], off, off offset:600 th:TH_LOAD_LU
	scratch_load_b64 v[82:83], off, off offset:496 th:TH_LOAD_LU
	v_add_f64_e32 v[52:53], v[52:53], v[46:47]
	s_wait_loadcnt 0x1
	v_add_f64_e32 v[50:51], v[56:57], v[50:51]
	scratch_load_b64 v[56:57], off, off offset:520 th:TH_LOAD_LU ; 8-byte Folded Reload
	v_add_f64_e32 v[46:47], v[50:51], v[44:45]
	v_mul_f64_e32 v[50:51], s[28:29], v[134:135]
	s_delay_alu instid0(VALU_DEP_1)
	v_add_f64_e32 v[50:51], v[241:242], v[50:51]
	s_wait_loadcnt 0x0
	v_add_f64_e64 v[48:49], v[48:49], -v[56:57]
	scratch_load_b64 v[56:57], off, off offset:632 th:TH_LOAD_LU ; 8-byte Folded Reload
	v_add_f64_e32 v[44:45], v[48:49], v[52:53]
	v_mul_f64_e32 v[52:53], s[16:17], v[120:121]
	v_mul_f64_e32 v[48:49], s[18:19], v[144:145]
	s_delay_alu instid0(VALU_DEP_2) | instskip(NEXT) | instid1(VALU_DEP_2)
	v_add_f64_e32 v[52:53], v[215:216], v[52:53]
	v_add_f64_e32 v[48:49], v[102:103], v[48:49]
	s_wait_loadcnt 0x0
	v_add_f64_e32 v[54:55], v[56:57], v[54:55]
	v_mul_f64_e32 v[56:57], s[26:27], v[100:101]
	s_delay_alu instid0(VALU_DEP_1) | instskip(SKIP_1) | instid1(VALU_DEP_2)
	v_add_f64_e32 v[56:57], v[58:59], v[56:57]
	v_mul_f64_e32 v[58:59], s[18:19], v[130:131]
	v_add_f64_e32 v[56:57], v[56:57], v[80:81]
	v_mul_f64_e32 v[80:81], s[16:17], v[108:109]
	s_delay_alu instid0(VALU_DEP_3) | instskip(NEXT) | instid1(VALU_DEP_3)
	v_add_f64_e64 v[58:59], v[58:59], -v[227:228]
	v_add_f64_e32 v[54:55], v[54:55], v[56:57]
	v_add_f64_e32 v[56:57], v[84:85], v[64:65]
	scratch_load_b64 v[84:85], off, off offset:488 th:TH_LOAD_LU ; 8-byte Folded Reload
	v_add_f64_e64 v[80:81], v[80:81], -v[82:83]
	v_mul_f64_e32 v[64:65], s[4:5], v[152:153]
	v_mul_f64_e32 v[82:83], s[22:23], v[96:97]
	v_add_f64_e32 v[52:53], v[52:53], v[54:55]
	s_delay_alu instid0(VALU_DEP_4) | instskip(NEXT) | instid1(VALU_DEP_4)
	v_add_f64_e32 v[54:55], v[80:81], v[56:57]
	v_add_f64_e32 v[64:65], v[219:220], v[64:65]
	scratch_load_b64 v[80:81], off, off offset:648 th:TH_LOAD_LU ; 8-byte Folded Reload
	v_mul_f64_e32 v[56:57], s[4:5], v[138:139]
	v_add_f64_e32 v[50:51], v[50:51], v[52:53]
	v_add_f64_e32 v[52:53], v[62:63], v[54:55]
	v_mul_f64_e32 v[62:63], s[22:23], v[100:101]
	v_mul_f64_e32 v[54:55], s[24:25], v[158:159]
	s_delay_alu instid0(VALU_DEP_4) | instskip(NEXT) | instid1(VALU_DEP_4)
	v_add_f64_e32 v[48:49], v[48:49], v[50:51]
	v_add_f64_e32 v[50:51], v[58:59], v[52:53]
	scratch_load_b64 v[58:59], off, off offset:624 th:TH_LOAD_LU ; 8-byte Folded Reload
	v_mul_f64_e32 v[52:53], s[24:25], v[148:149]
	v_add_f64_e32 v[54:55], v[211:212], v[54:55]
	v_add_f64_e32 v[48:49], v[64:65], v[48:49]
	scratch_load_b64 v[64:65], off, off offset:640 th:TH_LOAD_LU ; 8-byte Folded Reload
	s_wait_loadcnt 0x3
	v_add_f64_e64 v[82:83], v[82:83], -v[84:85]
	v_mul_f64_e32 v[84:85], s[4:5], v[104:105]
	s_delay_alu instid0(VALU_DEP_1) | instskip(SKIP_4) | instid1(VALU_DEP_2)
	v_add_f64_e64 v[84:85], v[84:85], -v[86:87]
	scratch_load_b64 v[86:87], off, off offset:56 th:TH_LOAD_LU ; 8-byte Folded Reload
	s_wait_loadcnt 0x3
	v_add_f64_e64 v[56:57], v[56:57], -v[80:81]
	v_mul_f64_e32 v[80:81], s[18:19], v[116:117]
	v_add_f64_e32 v[56:57], v[56:57], v[50:51]
	v_add_f64_e32 v[50:51], v[54:55], v[48:49]
	v_mul_f64_e32 v[54:55], s[18:19], v[134:135]
	s_delay_alu instid0(VALU_DEP_4) | instskip(NEXT) | instid1(VALU_DEP_2)
	v_add_f64_e64 v[80:81], v[80:81], -v[225:226]
	v_add_f64_e32 v[54:55], v[253:254], v[54:55]
	s_wait_loadcnt 0x1
	v_add_f64_e32 v[62:63], v[64:65], v[62:63]
	v_mul_f64_e32 v[64:65], s[6:7], v[130:131]
	s_delay_alu instid0(VALU_DEP_2)
	v_add_f64_e32 v[62:63], v[62:63], v[72:73]
	v_add_f64_e32 v[72:73], v[82:83], v[74:75]
	scratch_load_b64 v[82:83], off, off offset:584 th:TH_LOAD_LU ; 8-byte Folded Reload
	v_add_f64_e64 v[52:53], v[52:53], -v[58:59]
	v_mul_f64_e32 v[58:59], s[4:5], v[112:113]
	v_mul_f64_e32 v[74:75], s[26:27], v[108:109]
	v_add_f64_e64 v[64:65], v[64:65], -v[247:248]
	s_delay_alu instid0(VALU_DEP_4) | instskip(NEXT) | instid1(VALU_DEP_4)
	v_add_f64_e32 v[48:49], v[52:53], v[56:57]
	v_add_f64_e32 v[58:59], v[223:224], v[58:59]
	v_mul_f64_e32 v[56:57], s[26:27], v[120:121]
	v_mul_f64_e32 v[52:53], s[6:7], v[144:145]
	s_delay_alu instid0(VALU_DEP_3)
	v_add_f64_e32 v[58:59], v[58:59], v[62:63]
	v_add_f64_e32 v[62:63], v[84:85], v[72:73]
	scratch_load_b64 v[84:85], off, off offset:568 th:TH_LOAD_LU ; 8-byte Folded Reload
	v_add_f64_e32 v[56:57], v[243:244], v[56:57]
	v_add_f64_e32 v[52:53], v[118:119], v[52:53]
	v_mul_f64_e32 v[72:73], s[28:29], v[152:153]
	s_delay_alu instid0(VALU_DEP_3) | instskip(NEXT) | instid1(VALU_DEP_2)
	v_add_f64_e32 v[56:57], v[56:57], v[58:59]
	v_add_f64_e32 v[72:73], v[235:236], v[72:73]
	s_delay_alu instid0(VALU_DEP_2) | instskip(NEXT) | instid1(VALU_DEP_1)
	v_add_f64_e32 v[54:55], v[54:55], v[56:57]
	v_add_f64_e32 v[52:53], v[52:53], v[54:55]
	s_delay_alu instid0(VALU_DEP_1) | instskip(SKIP_1) | instid1(VALU_DEP_1)
	v_add_f64_e32 v[52:53], v[72:73], v[52:53]
	v_mul_f64_e32 v[72:73], s[16:17], v[100:101]
	v_add_f64_e32 v[72:73], v[213:214], v[72:73]
	s_delay_alu instid0(VALU_DEP_1) | instskip(SKIP_4) | instid1(VALU_DEP_3)
	v_add_f64_e32 v[68:69], v[72:73], v[68:69]
	v_mul_f64_e32 v[72:73], s[24:25], v[108:109]
	s_wait_loadcnt 0x1
	v_add_f64_e64 v[74:75], v[74:75], -v[82:83]
	v_mul_f64_e32 v[82:83], s[16:17], v[96:97]
	v_add_f64_e64 v[72:73], v[72:73], -v[201:202]
	s_delay_alu instid0(VALU_DEP_3) | instskip(SKIP_2) | instid1(VALU_DEP_3)
	v_add_f64_e32 v[58:59], v[74:75], v[62:63]
	v_mul_f64_e32 v[62:63], s[28:29], v[138:139]
	v_mul_f64_e32 v[74:75], s[28:29], v[130:131]
	v_add_f64_e32 v[56:57], v[80:81], v[58:59]
	s_delay_alu instid0(VALU_DEP_3)
	v_add_f64_e64 v[62:63], v[62:63], -v[221:222]
	v_mul_f64_e32 v[58:59], s[16:17], v[158:159]
	v_mul_f64_e32 v[80:81], s[4:5], v[116:117]
	s_wait_loadcnt 0x0
	v_add_f64_e64 v[82:83], v[82:83], -v[84:85]
	v_mul_f64_e32 v[84:85], s[18:19], v[104:105]
	v_add_f64_e64 v[74:75], v[74:75], -v[106:107]
	v_add_f64_e32 v[54:55], v[64:65], v[56:57]
	v_mul_f64_e32 v[56:57], s[16:17], v[148:149]
	v_add_f64_e32 v[58:59], v[231:232], v[58:59]
	v_mul_f64_e32 v[64:65], s[18:19], v[112:113]
	v_add_f64_e32 v[70:71], v[82:83], v[70:71]
	v_add_f64_e64 v[84:85], v[84:85], -v[197:198]
	v_add_f64_e64 v[80:81], v[80:81], -v[245:246]
	v_add_f64_e32 v[62:63], v[62:63], v[54:55]
	v_add_f64_e64 v[56:57], v[56:57], -v[205:206]
	v_add_f64_e32 v[54:55], v[58:59], v[52:53]
	v_add_f64_e32 v[64:65], v[239:240], v[64:65]
	v_mul_f64_e32 v[58:59], s[4:5], v[134:135]
	s_delay_alu instid0(VALU_DEP_4) | instskip(SKIP_1) | instid1(VALU_DEP_4)
	v_add_f64_e32 v[52:53], v[56:57], v[62:63]
	v_mul_f64_e32 v[62:63], s[24:25], v[120:121]
	v_add_f64_e32 v[64:65], v[64:65], v[68:69]
	v_mul_f64_e32 v[56:57], s[28:29], v[144:145]
	v_add_f64_e32 v[58:59], v[110:111], v[58:59]
	v_add_f64_e32 v[68:69], v[84:85], v[70:71]
	v_mul_f64_e32 v[70:71], s[6:7], v[152:153]
	s_clause 0x1
	scratch_load_b64 v[84:85], off, off offset:40 th:TH_LOAD_LU
	scratch_load_b64 v[82:83], off, off offset:8 th:TH_LOAD_LU
	v_add_f64_e32 v[62:63], v[251:252], v[62:63]
	v_add_f64_e32 v[56:57], v[122:123], v[56:57]
	;; [unrolled: 1-line block ×3, first 2 shown]
	s_delay_alu instid0(VALU_DEP_3) | instskip(SKIP_2) | instid1(VALU_DEP_3)
	v_add_f64_e32 v[62:63], v[62:63], v[64:65]
	v_add_f64_e32 v[64:65], v[72:73], v[68:69]
	v_mul_f64_e32 v[68:69], s[6:7], v[138:139]
	v_add_f64_e32 v[58:59], v[58:59], v[62:63]
	s_delay_alu instid0(VALU_DEP_3) | instskip(SKIP_1) | instid1(VALU_DEP_4)
	v_add_f64_e32 v[62:63], v[80:81], v[64:65]
	v_mul_f64_e32 v[64:65], s[22:23], v[158:159]
	v_add_f64_e64 v[68:69], v[68:69], -v[237:238]
	s_clause 0x1
	scratch_load_b64 v[80:81], off, off offset:136 th:TH_LOAD_LU
	scratch_load_b64 v[72:73], off, off offset:72 th:TH_LOAD_LU
	v_add_f64_e32 v[56:57], v[56:57], v[58:59]
	v_add_f64_e32 v[58:59], v[74:75], v[62:63]
	;; [unrolled: 1-line block ×3, first 2 shown]
	v_mul_f64_e32 v[62:63], s[22:23], v[148:149]
	scratch_load_b64 v[74:75], off, off offset:24 th:TH_LOAD_LU ; 8-byte Folded Reload
	v_add_f64_e32 v[56:57], v[70:71], v[56:57]
	v_add_f64_e32 v[68:69], v[68:69], v[58:59]
	scratch_load_b64 v[70:71], off, off offset:104 th:TH_LOAD_LU ; 8-byte Folded Reload
	v_add_f64_e64 v[62:63], v[62:63], -v[229:230]
	v_add_f64_e32 v[58:59], v[64:65], v[56:57]
	scratch_load_b64 v[64:65], off, off offset:184 th:TH_LOAD_LU ; 8-byte Folded Reload
	v_add_f64_e32 v[56:57], v[62:63], v[68:69]
	scratch_load_b64 v[68:69], off, off offset:152 th:TH_LOAD_LU ; 8-byte Folded Reload
	v_mul_f64_e32 v[62:63], s[24:25], v[144:145]
	s_wait_loadcnt 0x1
	s_delay_alu instid0(VALU_DEP_1) | instskip(SKIP_2) | instid1(VALU_DEP_1)
	v_add_f64_e32 v[62:63], v[64:65], v[62:63]
	v_mul_f64_e32 v[64:65], s[22:23], v[134:135]
	s_wait_loadcnt 0x0
	v_add_f64_e32 v[64:65], v[68:69], v[64:65]
	v_mul_f64_e32 v[68:69], s[18:19], v[120:121]
	s_delay_alu instid0(VALU_DEP_1) | instskip(SKIP_1) | instid1(VALU_DEP_1)
	v_add_f64_e32 v[68:69], v[70:71], v[68:69]
	v_mul_f64_e32 v[70:71], s[16:17], v[112:113]
	v_add_f64_e32 v[70:71], v[72:73], v[70:71]
	v_mul_f64_e32 v[72:73], s[6:7], v[100:101]
	s_delay_alu instid0(VALU_DEP_1) | instskip(SKIP_1) | instid1(VALU_DEP_2)
	v_add_f64_e32 v[72:73], v[74:75], v[72:73]
	v_mul_f64_e32 v[74:75], s[24:25], v[130:131]
	v_add_f64_e32 v[60:61], v[72:73], v[60:61]
	s_delay_alu instid0(VALU_DEP_2) | instskip(SKIP_2) | instid1(VALU_DEP_4)
	v_add_f64_e64 v[74:75], v[74:75], -v[80:81]
	v_mul_f64_e32 v[80:81], s[6:7], v[96:97]
	v_mul_f64_e32 v[72:73], s[22:23], v[116:117]
	v_add_f64_e32 v[60:61], v[70:71], v[60:61]
	v_mul_f64_e32 v[70:71], s[26:27], v[152:153]
	s_delay_alu instid0(VALU_DEP_4) | instskip(SKIP_1) | instid1(VALU_DEP_4)
	v_add_f64_e64 v[80:81], v[80:81], -v[82:83]
	v_mul_f64_e32 v[82:83], s[16:17], v[104:105]
	v_add_f64_e32 v[60:61], v[68:69], v[60:61]
	v_mul_f64_e32 v[68:69], s[26:27], v[138:139]
	s_delay_alu instid0(VALU_DEP_4) | instskip(SKIP_4) | instid1(VALU_DEP_3)
	v_add_f64_e32 v[66:67], v[80:81], v[66:67]
	scratch_load_b64 v[80:81], off, off offset:88 th:TH_LOAD_LU ; 8-byte Folded Reload
	v_add_f64_e64 v[82:83], v[82:83], -v[84:85]
	v_mul_f64_e32 v[84:85], s[18:19], v[108:109]
	v_add_f64_e32 v[60:61], v[64:65], v[60:61]
	v_add_f64_e32 v[66:67], v[82:83], v[66:67]
	s_delay_alu instid0(VALU_DEP_3) | instskip(NEXT) | instid1(VALU_DEP_3)
	v_add_f64_e64 v[84:85], v[84:85], -v[86:87]
	v_add_f64_e32 v[60:61], v[62:63], v[60:61]
	s_delay_alu instid0(VALU_DEP_2)
	v_add_f64_e32 v[66:67], v[84:85], v[66:67]
	s_wait_loadcnt 0x0
	v_add_f64_e64 v[72:73], v[72:73], -v[80:81]
	scratch_load_b64 v[80:81], off, off offset:216 th:TH_LOAD_LU ; 8-byte Folded Reload
	v_add_f64_e32 v[64:65], v[72:73], v[66:67]
	scratch_load_b64 v[72:73], off, off offset:232 th:TH_LOAD_LU ; 8-byte Folded Reload
	v_mul_f64_e32 v[66:67], s[28:29], v[158:159]
	v_add_f64_e32 v[62:63], v[74:75], v[64:65]
	v_mul_f64_e32 v[64:65], s[28:29], v[148:149]
	s_wait_loadcnt 0x1
	v_add_f64_e32 v[70:71], v[80:81], v[70:71]
	scratch_load_b64 v[80:81], off, off offset:168 th:TH_LOAD_LU ; 8-byte Folded Reload
	s_wait_loadcnt 0x1
	v_add_f64_e32 v[66:67], v[72:73], v[66:67]
	scratch_load_b64 v[72:73], off, off offset:200 th:TH_LOAD_LU ; 8-byte Folded Reload
	v_add_f64_e32 v[60:61], v[70:71], v[60:61]
	s_wait_loadcnt 0x1
	v_add_f64_e64 v[68:69], v[68:69], -v[80:81]
	s_wait_loadcnt 0x0
	v_add_f64_e64 v[64:65], v[64:65], -v[72:73]
	s_delay_alu instid0(VALU_DEP_2) | instskip(NEXT) | instid1(VALU_DEP_4)
	v_add_f64_e32 v[68:69], v[68:69], v[62:63]
	v_add_f64_e32 v[62:63], v[66:67], v[60:61]
	s_delay_alu instid0(VALU_DEP_2) | instskip(SKIP_1) | instid1(VALU_DEP_1)
	v_add_f64_e32 v[60:61], v[64:65], v[68:69]
	v_mul_lo_u16 v64, v168, 17
	v_and_b32_e32 v64, 0xffff, v64
	s_delay_alu instid0(VALU_DEP_1)
	v_lshlrev_b32_e32 v64, 4, v64
	ds_store_b128 v64, v[36:39] offset:32
	ds_store_b128 v64, v[76:79] offset:160
	;; [unrolled: 1-line block ×15, first 2 shown]
	ds_store_b128 v64, v[28:31]
	ds_store_b128 v64, v[0:3] offset:256
.LBB0_7:
	s_wait_alu 0xfffe
	s_or_b32 exec_lo, exec_lo, s0
	v_and_b32_e32 v24, 0xff, v168
	s_load_b128 s[4:7], s[2:3], 0x0
	global_wb scope:SCOPE_SE
	s_wait_dscnt 0x0
	s_wait_kmcnt 0x0
	s_barrier_signal -1
	s_barrier_wait -1
	v_mul_lo_u16 v24, 0xf1, v24
	global_inv scope:SCOPE_SE
	s_mov_b32 s2, 0x134454ff
	s_mov_b32 s3, 0x3fee6f0e
	;; [unrolled: 1-line block ×3, first 2 shown]
	v_lshrrev_b16 v49, 12, v24
	s_wait_alu 0xfffe
	s_mov_b32 s0, s2
	s_mov_b32 s16, 0x4755a5e
	;; [unrolled: 1-line block ×4, first 2 shown]
	v_mul_lo_u16 v24, v49, 17
	s_wait_alu 0xfffe
	s_mov_b32 s14, s16
	s_mov_b32 s18, 0x372fe950
	;; [unrolled: 1-line block ×4, first 2 shown]
	v_sub_nc_u16 v24, v168, v24
	s_mov_b32 s21, 0x3fe9e377
	s_delay_alu instid0(VALU_DEP_1) | instskip(NEXT) | instid1(VALU_DEP_1)
	v_and_b32_e32 v48, 0xff, v24
	v_mad_co_u64_u32 v[28:29], null, 0x90, v48, s[10:11]
	s_clause 0x8
	global_load_b128 v[44:47], v[28:29], off offset:32
	global_load_b128 v[56:59], v[28:29], off offset:64
	;; [unrolled: 1-line block ×4, first 2 shown]
	global_load_b128 v[248:251], v[28:29], off
	global_load_b128 v[38:41], v[28:29], off offset:16
	global_load_b128 v[34:37], v[28:29], off offset:48
	;; [unrolled: 1-line block ×4, first 2 shown]
	ds_load_b128 v[64:67], v255 offset:8976
	ds_load_b128 v[68:71], v255 offset:14960
	ds_load_b128 v[72:75], v255 offset:20944
	ds_load_b128 v[80:83], v255 offset:26928
	ds_load_b128 v[84:87], v255 offset:2992
	ds_load_b128 v[88:91], v255 offset:5984
	s_wait_loadcnt_dscnt 0x805
	v_mul_f64_e32 v[50:51], v[66:67], v[46:47]
	v_mul_f64_e32 v[92:93], v[64:65], v[46:47]
	s_wait_loadcnt_dscnt 0x704
	v_mul_f64_e32 v[94:95], v[70:71], v[58:59]
	v_mul_f64_e32 v[96:97], v[68:69], v[58:59]
	s_wait_loadcnt_dscnt 0x603
	v_mul_f64_e32 v[98:99], v[72:73], v[54:55]
	s_wait_loadcnt_dscnt 0x502
	v_mul_f64_e32 v[100:101], v[80:81], v[62:63]
	v_mul_f64_e32 v[102:103], v[82:83], v[62:63]
	;; [unrolled: 1-line block ×3, first 2 shown]
	s_wait_loadcnt_dscnt 0x401
	v_mul_f64_e32 v[106:107], v[86:87], v[250:251]
	v_mul_f64_e32 v[108:109], v[84:85], v[250:251]
	v_fma_f64 v[50:51], v[64:65], v[44:45], -v[50:51]
	v_fma_f64 v[92:93], v[66:67], v[44:45], v[92:93]
	v_fma_f64 v[94:95], v[68:69], v[56:57], -v[94:95]
	v_fma_f64 v[96:97], v[70:71], v[56:57], v[96:97]
	v_fma_f64 v[98:99], v[74:75], v[52:53], v[98:99]
	;; [unrolled: 1-line block ×3, first 2 shown]
	v_fma_f64 v[80:81], v[80:81], v[60:61], -v[102:103]
	v_fma_f64 v[100:101], v[72:73], v[52:53], -v[104:105]
	ds_load_b128 v[64:67], v255 offset:11968
	ds_load_b128 v[68:71], v255 offset:17952
	;; [unrolled: 1-line block ×3, first 2 shown]
	s_wait_loadcnt_dscnt 0x303
	v_mul_f64_e32 v[102:103], v[90:91], v[40:41]
	v_mul_f64_e32 v[104:105], v[88:89], v[40:41]
	v_fma_f64 v[84:85], v[84:85], v[248:249], -v[106:107]
	v_fma_f64 v[86:87], v[86:87], v[248:249], v[108:109]
	s_wait_loadcnt 0x1
	scratch_store_b128 off, v[30:33], off offset:24 ; 16-byte Folded Spill
	s_wait_loadcnt 0x0
	s_clause 0x2
	scratch_store_b128 off, v[24:27], off offset:8
	scratch_store_b128 off, v[38:41], off offset:56
	;; [unrolled: 1-line block ×3, first 2 shown]
	s_wait_dscnt 0x2
	v_mul_f64_e32 v[110:111], v[66:67], v[36:37]
	v_mul_f64_e32 v[112:113], v[64:65], v[36:37]
	s_wait_dscnt 0x1
	v_mul_f64_e32 v[114:115], v[70:71], v[32:33]
	s_wait_dscnt 0x0
	v_mul_f64_e32 v[116:117], v[74:75], v[26:27]
	v_mul_f64_e32 v[118:119], v[68:69], v[32:33]
	;; [unrolled: 1-line block ×3, first 2 shown]
	v_add_f64_e64 v[130:131], v[50:51], -v[94:95]
	v_add_f64_e64 v[134:135], v[94:95], -v[50:51]
	v_add_f64_e32 v[106:107], v[96:97], v[98:99]
	v_add_f64_e32 v[108:109], v[92:93], v[82:83]
	;; [unrolled: 1-line block ×4, first 2 shown]
	v_add_f64_e64 v[132:133], v[80:81], -v[100:101]
	v_fma_f64 v[88:89], v[88:89], v[38:39], -v[102:103]
	v_fma_f64 v[90:91], v[90:91], v[38:39], v[104:105]
	v_add_f64_e64 v[136:137], v[100:101], -v[80:81]
	v_add_f64_e64 v[138:139], v[92:93], -v[96:97]
	;; [unrolled: 1-line block ×5, first 2 shown]
	v_fma_f64 v[102:103], v[64:65], v[34:35], -v[110:111]
	v_fma_f64 v[104:105], v[66:67], v[34:35], v[112:113]
	v_fma_f64 v[68:69], v[68:69], v[30:31], -v[114:115]
	v_fma_f64 v[72:73], v[72:73], v[24:25], -v[116:117]
	v_fma_f64 v[70:71], v[70:71], v[30:31], v[118:119]
	v_fma_f64 v[74:75], v[74:75], v[24:25], v[120:121]
	v_add_f64_e64 v[110:111], v[92:93], -v[82:83]
	v_add_f64_e64 v[112:113], v[96:97], -v[98:99]
	;; [unrolled: 1-line block ×4, first 2 shown]
	ds_load_b128 v[64:67], v255
	v_add_f64_e32 v[50:51], v[84:85], v[50:51]
	v_and_b32_e32 v24, 0xffff, v49
	global_wb scope:SCOPE_SE
	s_wait_storecnt_dscnt 0x0
	s_barrier_signal -1
	s_barrier_wait -1
	v_fma_f64 v[106:107], v[106:107], -0.5, v[86:87]
	v_fma_f64 v[108:109], v[108:109], -0.5, v[86:87]
	;; [unrolled: 1-line block ×4, first 2 shown]
	v_add_f64_e32 v[84:85], v[86:87], v[92:93]
	v_mul_u32_u24_e32 v24, 0xaa, v24
	global_inv scope:SCOPE_SE
	v_add_lshl_u32 v245, v24, v48, 4
	v_add_f64_e32 v[154:155], v[64:65], v[88:89]
	v_add_f64_e32 v[160:161], v[66:67], v[90:91]
	;; [unrolled: 1-line block ×6, first 2 shown]
	v_add_f64_e64 v[156:157], v[90:91], -v[74:75]
	v_add_f64_e64 v[158:159], v[104:105], -v[70:71]
	;; [unrolled: 1-line block ×4, first 2 shown]
	v_add_f64_e32 v[50:51], v[50:51], v[94:95]
	v_fma_f64 v[146:147], v[114:115], s[0:1], v[106:107]
	v_fma_f64 v[148:149], v[116:117], s[2:3], v[108:109]
	;; [unrolled: 1-line block ×8, first 2 shown]
	v_add_f64_e32 v[84:85], v[84:85], v[96:97]
	v_fma_f64 v[86:87], v[122:123], -0.5, v[64:65]
	v_fma_f64 v[64:65], v[124:125], -0.5, v[64:65]
	;; [unrolled: 1-line block ×4, first 2 shown]
	v_add_f64_e32 v[122:123], v[130:131], v[132:133]
	v_add_f64_e32 v[124:125], v[134:135], v[136:137]
	;; [unrolled: 1-line block ×4, first 2 shown]
	v_add_f64_e64 v[138:139], v[74:75], -v[70:71]
	v_add_f64_e64 v[140:141], v[70:71], -v[74:75]
	v_add_f64_e32 v[50:51], v[50:51], v[100:101]
	s_wait_alu 0xfffe
	v_fma_f64 v[130:131], v[116:117], s[14:15], v[146:147]
	v_fma_f64 v[132:133], v[114:115], s[14:15], v[148:149]
	;; [unrolled: 1-line block ×8, first 2 shown]
	v_add_f64_e64 v[114:115], v[88:89], -v[102:103]
	v_add_f64_e64 v[116:117], v[72:73], -v[68:69]
	;; [unrolled: 1-line block ×6, first 2 shown]
	v_add_f64_e32 v[102:103], v[154:155], v[102:103]
	v_add_f64_e32 v[104:105], v[160:161], v[104:105]
	;; [unrolled: 1-line block ×3, first 2 shown]
	v_fma_f64 v[94:95], v[156:157], s[2:3], v[86:87]
	v_fma_f64 v[86:87], v[156:157], s[0:1], v[86:87]
	;; [unrolled: 1-line block ×8, first 2 shown]
	v_add_f64_e32 v[50:51], v[50:51], v[80:81]
	v_fma_f64 v[130:131], v[126:127], s[18:19], v[130:131]
	v_fma_f64 v[132:133], v[128:129], s[18:19], v[132:133]
	;; [unrolled: 1-line block ×8, first 2 shown]
	v_add_f64_e32 v[114:115], v[114:115], v[116:117]
	v_add_f64_e32 v[88:89], v[88:89], v[118:119]
	;; [unrolled: 1-line block ×6, first 2 shown]
	v_fma_f64 v[94:95], v[158:159], s[16:17], v[94:95]
	v_fma_f64 v[86:87], v[158:159], s[14:15], v[86:87]
	;; [unrolled: 1-line block ×8, first 2 shown]
	v_mul_f64_e32 v[102:103], s[16:17], v[130:131]
	v_mul_f64_e32 v[104:105], s[2:3], v[132:133]
	;; [unrolled: 1-line block ×8, first 2 shown]
	v_add_f64_e32 v[68:69], v[68:69], v[72:73]
	v_add_f64_e32 v[70:71], v[70:71], v[74:75]
	;; [unrolled: 1-line block ×3, first 2 shown]
	v_fma_f64 v[74:75], v[114:115], s[18:19], v[94:95]
	v_fma_f64 v[114:115], v[114:115], s[18:19], v[86:87]
	;; [unrolled: 1-line block ×10, first 2 shown]
	v_fma_f64 v[116:117], v[108:109], s[2:3], -v[118:119]
	v_fma_f64 v[118:119], v[106:107], s[16:17], -v[120:121]
	v_fma_f64 v[120:121], v[130:131], s[20:21], v[122:123]
	v_fma_f64 v[122:123], v[132:133], s[18:19], v[124:125]
	v_fma_f64 v[124:125], v[134:135], s[0:1], -v[126:127]
	v_fma_f64 v[126:127], v[136:137], s[14:15], -v[128:129]
	v_cmp_gt_u16_e64 s0, 0xaa, v168
	v_add_f64_e32 v[100:101], v[68:69], v[50:51]
	v_add_f64_e64 v[104:105], v[68:69], -v[50:51]
	v_add_f64_e32 v[102:103], v[70:71], v[72:73]
	v_add_f64_e64 v[106:107], v[70:71], -v[72:73]
	v_add_f64_e32 v[84:85], v[74:75], v[112:113]
	v_add_f64_e32 v[88:89], v[96:97], v[110:111]
	;; [unrolled: 1-line block ×8, first 2 shown]
	v_add_f64_e64 v[108:109], v[74:75], -v[112:113]
	v_add_f64_e64 v[96:97], v[96:97], -v[110:111]
	;; [unrolled: 1-line block ×8, first 2 shown]
	ds_store_b128 v245, v[100:103]
	ds_store_b128 v245, v[84:87] offset:272
	ds_store_b128 v245, v[88:91] offset:544
	;; [unrolled: 1-line block ×9, first 2 shown]
	global_wb scope:SCOPE_SE
	s_wait_dscnt 0x0
	s_barrier_signal -1
	s_barrier_wait -1
	global_inv scope:SCOPE_SE
	s_and_saveexec_b32 s1, s0
	s_cbranch_execz .LBB0_9
; %bb.8:
	ds_load_b128 v[100:103], v255
	ds_load_b128 v[84:87], v255 offset:2720
	ds_load_b128 v[88:91], v255 offset:5440
	;; [unrolled: 1-line block ×10, first 2 shown]
.LBB0_9:
	s_wait_alu 0xfffe
	s_or_b32 exec_lo, exec_lo, s1
	v_add_nc_u32_e32 v24, 0xffffff56, v168
	s_mov_b32 s22, 0xf8bb580b
	s_mov_b32 s18, 0x43842ef
	s_mov_b32 s24, 0xbb3a28a1
	s_mov_b32 s26, 0xfd768dbf
	v_cndmask_b32_e64 v24, v24, v168, s0
	s_mov_b32 s23, 0xbfe14ced
	s_mov_b32 s17, 0xbfed1bb4
	;; [unrolled: 1-line block ×4, first 2 shown]
	v_mul_i32_i24_e32 v25, 0xa0, v24
	v_mul_hi_i32_i24_e32 v24, 0xa0, v24
	s_mov_b32 s25, 0xbfe82f19
	s_mov_b32 s27, 0xbfd207e7
	s_mov_b32 s2, 0xd9c712b6
	v_add_co_u32 v124, s1, s10, v25
	s_wait_alu 0xf1ff
	v_add_co_ci_u32_e64 v125, s1, s11, v24, s1
	s_mov_b32 s10, 0x8764f0ba
	s_mov_b32 s14, 0x640f44db
	;; [unrolled: 1-line block ×3, first 2 shown]
	s_clause 0x3
	global_load_b128 v[24:27], v[124:125], off offset:2448
	global_load_b128 v[28:31], v[124:125], off offset:2592
	global_load_b128 v[32:35], v[124:125], off offset:2464
	global_load_b128 v[48:51], v[124:125], off offset:2576
	s_mov_b32 s28, 0x9bcd5057
	s_mov_b32 s11, 0x3feaeb8c
	;; [unrolled: 1-line block ×7, first 2 shown]
	s_wait_alu 0xfffe
	s_mov_b32 s34, s26
	s_mov_b32 s37, 0x3fefac9e
	;; [unrolled: 1-line block ×5, first 2 shown]
	s_wait_loadcnt_dscnt 0x309
	v_mul_f64_e32 v[120:121], v[86:87], v[26:27]
	v_mul_f64_e32 v[122:123], v[84:85], v[26:27]
	scratch_store_b128 off, v[24:27], off offset:72 ; 16-byte Folded Spill
	s_wait_loadcnt 0x2
	scratch_store_b128 off, v[28:31], off offset:88 ; 16-byte Folded Spill
	s_wait_loadcnt 0x1
	;; [unrolled: 2-line block ×3, first 2 shown]
	scratch_store_b128 off, v[48:51], off offset:120 ; 16-byte Folded Spill
	v_fma_f64 v[120:121], v[84:85], v[24:25], -v[120:121]
	v_fma_f64 v[122:123], v[86:87], v[24:25], v[122:123]
	s_wait_dscnt 0x0
	v_mul_f64_e32 v[84:85], v[76:77], v[30:31]
	v_mul_f64_e32 v[86:87], v[78:79], v[30:31]
	s_delay_alu instid0(VALU_DEP_4) | instskip(NEXT) | instid1(VALU_DEP_4)
	v_add_f64_e32 v[187:188], v[100:101], v[120:121]
	v_add_f64_e32 v[189:190], v[102:103], v[122:123]
	s_delay_alu instid0(VALU_DEP_4) | instskip(NEXT) | instid1(VALU_DEP_4)
	v_fma_f64 v[132:133], v[78:79], v[28:29], v[84:85]
	v_fma_f64 v[134:135], v[76:77], v[28:29], -v[86:87]
	s_clause 0x1
	global_load_b128 v[24:27], v[124:125], off offset:2480
	global_load_b128 v[28:31], v[124:125], off offset:2496
	v_mul_f64_e32 v[76:77], v[90:91], v[34:35]
	v_mul_f64_e32 v[78:79], v[88:89], v[34:35]
	v_add_f64_e32 v[146:147], v[122:123], v[132:133]
	s_delay_alu instid0(VALU_DEP_3) | instskip(NEXT) | instid1(VALU_DEP_3)
	v_fma_f64 v[152:153], v[88:89], v[32:33], -v[76:77]
	v_fma_f64 v[154:155], v[90:91], v[32:33], v[78:79]
	v_mul_f64_e32 v[78:79], v[118:119], v[50:51]
	v_mul_f64_e32 v[76:77], v[116:117], v[50:51]
	s_delay_alu instid0(VALU_DEP_2) | instskip(NEXT) | instid1(VALU_DEP_2)
	v_fma_f64 v[150:151], v[116:117], v[48:49], -v[78:79]
	v_fma_f64 v[148:149], v[118:119], v[48:49], v[76:77]
	v_add_f64_e32 v[118:119], v[120:121], v[134:135]
	s_delay_alu instid0(VALU_DEP_3) | instskip(SKIP_1) | instid1(VALU_DEP_4)
	v_add_f64_e32 v[203:204], v[152:153], v[150:151]
	v_add_f64_e64 v[205:206], v[152:153], -v[150:151]
	v_add_f64_e32 v[207:208], v[154:155], v[148:149]
	s_wait_loadcnt 0x1
	v_mul_f64_e32 v[88:89], v[82:83], v[26:27]
	scratch_store_b128 off, v[24:27], off offset:136 ; 16-byte Folded Spill
	v_fma_f64 v[156:157], v[80:81], v[24:25], -v[88:89]
	v_mul_f64_e32 v[80:81], v[80:81], v[26:27]
	s_delay_alu instid0(VALU_DEP_1)
	v_fma_f64 v[158:159], v[82:83], v[24:25], v[80:81]
	s_clause 0x1
	global_load_b128 v[24:27], v[124:125], off offset:2560
	global_load_b128 v[32:35], v[124:125], off offset:2544
	s_wait_loadcnt 0x2
	scratch_store_b128 off, v[28:31], off offset:168 ; 16-byte Folded Spill
	s_wait_loadcnt 0x1
	v_mul_f64_e32 v[116:117], v[112:113], v[26:27]
	scratch_store_b128 off, v[24:27], off offset:152 ; 16-byte Folded Spill
	s_wait_loadcnt 0x0
	scratch_store_b128 off, v[32:35], off offset:184 ; 16-byte Folded Spill
	v_fma_f64 v[160:161], v[114:115], v[24:25], v[116:117]
	v_mul_f64_e32 v[114:115], v[114:115], v[26:27]
	s_delay_alu instid0(VALU_DEP_2) | instskip(NEXT) | instid1(VALU_DEP_2)
	v_add_f64_e64 v[209:210], v[158:159], -v[160:161]
	v_fma_f64 v[162:163], v[112:113], v[24:25], -v[114:115]
	v_mul_f64_e32 v[112:113], v[94:95], v[30:31]
	v_add_f64_e32 v[215:216], v[158:159], v[160:161]
	s_delay_alu instid0(VALU_DEP_3) | instskip(NEXT) | instid1(VALU_DEP_3)
	v_add_f64_e32 v[211:212], v[156:157], v[162:163]
	v_fma_f64 v[169:170], v[92:93], v[28:29], -v[112:113]
	v_mul_f64_e32 v[92:93], v[92:93], v[30:31]
	v_add_f64_e64 v[213:214], v[156:157], -v[162:163]
	s_delay_alu instid0(VALU_DEP_2) | instskip(SKIP_4) | instid1(VALU_DEP_1)
	v_fma_f64 v[171:172], v[94:95], v[28:29], v[92:93]
	s_clause 0x1
	global_load_b128 v[24:27], v[124:125], off offset:2512
	global_load_b128 v[28:31], v[124:125], off offset:2528
	v_mul_f64_e32 v[92:93], v[98:99], v[34:35]
	v_fma_f64 v[164:165], v[96:97], v[32:33], -v[92:93]
	v_mul_f64_e32 v[92:93], v[96:97], v[34:35]
	s_delay_alu instid0(VALU_DEP_2) | instskip(NEXT) | instid1(VALU_DEP_2)
	v_add_f64_e32 v[219:220], v[169:170], v[164:165]
	v_fma_f64 v[166:167], v[98:99], v[32:33], v[92:93]
	v_add_f64_e64 v[221:222], v[169:170], -v[164:165]
	s_delay_alu instid0(VALU_DEP_2)
	v_add_f64_e64 v[217:218], v[171:172], -v[166:167]
	v_add_f64_e32 v[223:224], v[171:172], v[166:167]
	s_wait_loadcnt 0x1
	v_mul_f64_e32 v[112:113], v[106:107], v[26:27]
	scratch_store_b128 off, v[24:27], off offset:200 ; 16-byte Folded Spill
	s_wait_loadcnt 0x0
	scratch_store_b128 off, v[28:31], off offset:216 ; 16-byte Folded Spill
	v_fma_f64 v[173:174], v[104:105], v[24:25], -v[112:113]
	v_mul_f64_e32 v[104:105], v[104:105], v[26:27]
	s_delay_alu instid0(VALU_DEP_1) | instskip(SKIP_1) | instid1(VALU_DEP_1)
	v_fma_f64 v[104:105], v[106:107], v[24:25], v[104:105]
	v_mul_f64_e32 v[106:107], v[110:111], v[30:31]
	v_fma_f64 v[106:107], v[108:109], v[28:29], -v[106:107]
	v_mul_f64_e32 v[108:109], v[108:109], v[30:31]
	s_delay_alu instid0(VALU_DEP_2) | instskip(NEXT) | instid1(VALU_DEP_2)
	v_add_f64_e32 v[227:228], v[173:174], v[106:107]
	v_fma_f64 v[175:176], v[110:111], v[28:29], v[108:109]
	v_add_f64_e64 v[108:109], v[122:123], -v[132:133]
	v_add_f64_e64 v[229:230], v[173:174], -v[106:107]
	s_delay_alu instid0(VALU_DEP_3) | instskip(NEXT) | instid1(VALU_DEP_3)
	v_add_f64_e64 v[225:226], v[104:105], -v[175:176]
	v_mul_f64_e32 v[110:111], s[22:23], v[108:109]
	v_mul_f64_e32 v[112:113], s[16:17], v[108:109]
	;; [unrolled: 1-line block ×5, first 2 shown]
	v_add_f64_e32 v[231:232], v[104:105], v[175:176]
	v_fma_f64 v[124:125], v[118:119], s[10:11], -v[110:111]
	v_fma_f64 v[110:111], v[118:119], s[10:11], v[110:111]
	v_fma_f64 v[126:127], v[118:119], s[2:3], -v[112:113]
	v_fma_f64 v[112:113], v[118:119], s[2:3], v[112:113]
	;; [unrolled: 2-line block ×5, first 2 shown]
	v_add_f64_e64 v[118:119], v[120:121], -v[134:135]
	v_add_f64_e32 v[120:121], v[100:101], v[124:125]
	v_add_f64_e32 v[110:111], v[100:101], v[110:111]
	;; [unrolled: 1-line block ×8, first 2 shown]
	v_mul_f64_e32 v[138:139], s[22:23], v[118:119]
	v_mul_f64_e32 v[140:141], s[16:17], v[118:119]
	;; [unrolled: 1-line block ×6, first 2 shown]
	v_fma_f64 v[177:178], v[146:147], s[10:11], v[138:139]
	v_fma_f64 v[179:180], v[146:147], s[2:3], v[140:141]
	;; [unrolled: 1-line block ×3, first 2 shown]
	v_fma_f64 v[138:139], v[146:147], s[10:11], -v[138:139]
	v_fma_f64 v[140:141], v[146:147], s[2:3], -v[140:141]
	;; [unrolled: 1-line block ×3, first 2 shown]
	v_fma_f64 v[183:184], v[146:147], s[20:21], v[144:145]
	v_fma_f64 v[144:145], v[146:147], s[20:21], -v[144:145]
	v_fma_f64 v[185:186], v[146:147], s[28:29], v[118:119]
	v_fma_f64 v[118:119], v[146:147], s[28:29], -v[118:119]
	v_add_f64_e32 v[146:147], v[100:101], v[126:127]
	v_add_f64_e32 v[122:123], v[102:103], v[177:178]
	;; [unrolled: 1-line block ×5, first 2 shown]
	v_add_f64_e64 v[100:101], v[154:155], -v[148:149]
	v_add_f64_e32 v[138:139], v[102:103], v[138:139]
	v_add_f64_e32 v[140:141], v[102:103], v[140:141]
	;; [unrolled: 1-line block ×7, first 2 shown]
	v_mul_f64_e32 v[118:119], s[18:19], v[209:210]
	v_mul_f64_e32 v[114:115], s[16:17], v[205:206]
	;; [unrolled: 1-line block ×3, first 2 shown]
	s_wait_alu 0xfffe
	v_mul_f64_e32 v[144:145], s[36:37], v[221:222]
	v_mul_f64_e32 v[102:103], s[16:17], v[100:101]
	s_mov_b32 s17, 0x3fed1bb4
	s_delay_alu instid0(VALU_DEP_4) | instskip(NEXT) | instid1(VALU_DEP_2)
	v_fma_f64 v[116:117], v[207:208], s[2:3], v[114:115]
	v_fma_f64 v[108:109], v[203:204], s[2:3], -v[102:103]
	v_fma_f64 v[102:103], v[203:204], s[2:3], v[102:103]
	s_delay_alu instid0(VALU_DEP_3) | instskip(NEXT) | instid1(VALU_DEP_3)
	v_add_f64_e32 v[116:117], v[116:117], v[122:123]
	v_add_f64_e32 v[108:109], v[108:109], v[120:121]
	v_fma_f64 v[120:121], v[211:212], s[14:15], -v[118:119]
	s_delay_alu instid0(VALU_DEP_4) | instskip(SKIP_2) | instid1(VALU_DEP_4)
	v_add_f64_e32 v[102:103], v[102:103], v[110:111]
	v_fma_f64 v[110:111], v[207:208], s[2:3], -v[114:115]
	v_fma_f64 v[114:115], v[211:212], s[14:15], v[118:119]
	v_add_f64_e32 v[108:109], v[120:121], v[108:109]
	v_mul_f64_e32 v[120:121], s[18:19], v[213:214]
	s_delay_alu instid0(VALU_DEP_4) | instskip(NEXT) | instid1(VALU_DEP_4)
	v_add_f64_e32 v[110:111], v[110:111], v[138:139]
	v_add_f64_e32 v[102:103], v[114:115], v[102:103]
	s_delay_alu instid0(VALU_DEP_3) | instskip(SKIP_2) | instid1(VALU_DEP_3)
	v_fma_f64 v[122:123], v[215:216], s[14:15], v[120:121]
	v_fma_f64 v[114:115], v[215:216], s[14:15], -v[120:121]
	v_mul_f64_e32 v[120:121], s[34:35], v[209:210]
	v_add_f64_e32 v[116:117], v[122:123], v[116:117]
	v_mul_f64_e32 v[122:123], s[24:25], v[217:218]
	s_delay_alu instid0(VALU_DEP_4) | instskip(NEXT) | instid1(VALU_DEP_2)
	v_add_f64_e32 v[110:111], v[114:115], v[110:111]
	v_fma_f64 v[124:125], v[219:220], s[20:21], -v[122:123]
	v_fma_f64 v[114:115], v[219:220], s[20:21], v[122:123]
	v_fma_f64 v[122:123], v[211:212], s[28:29], -v[120:121]
	s_delay_alu instid0(VALU_DEP_3) | instskip(SKIP_1) | instid1(VALU_DEP_4)
	v_add_f64_e32 v[108:109], v[124:125], v[108:109]
	v_fma_f64 v[124:125], v[223:224], s[20:21], v[136:137]
	v_add_f64_e32 v[102:103], v[114:115], v[102:103]
	v_fma_f64 v[114:115], v[223:224], s[20:21], -v[136:137]
	s_delay_alu instid0(VALU_DEP_3) | instskip(SKIP_1) | instid1(VALU_DEP_3)
	v_add_f64_e32 v[116:117], v[124:125], v[116:117]
	v_fma_f64 v[124:125], v[227:228], s[28:29], -v[142:143]
	v_add_f64_e32 v[110:111], v[114:115], v[110:111]
	v_fma_f64 v[114:115], v[227:228], s[28:29], v[142:143]
	v_mul_f64_e32 v[142:143], s[36:37], v[217:218]
	s_delay_alu instid0(VALU_DEP_4) | instskip(SKIP_1) | instid1(VALU_DEP_1)
	v_add_f64_e32 v[124:125], v[124:125], v[108:109]
	v_mul_f64_e32 v[108:109], s[26:27], v[229:230]
	v_fma_f64 v[126:127], v[231:232], s[28:29], v[108:109]
	s_delay_alu instid0(VALU_DEP_1) | instskip(SKIP_3) | instid1(VALU_DEP_3)
	v_add_f64_e32 v[126:127], v[126:127], v[116:117]
	v_fma_f64 v[116:117], v[231:232], s[28:29], -v[108:109]
	v_add_f64_e32 v[108:109], v[114:115], v[102:103]
	v_mul_f64_e32 v[102:103], s[24:25], v[100:101]
	v_add_f64_e32 v[110:111], v[116:117], v[110:111]
	v_mul_f64_e32 v[116:117], s[24:25], v[205:206]
	s_delay_alu instid0(VALU_DEP_3) | instskip(SKIP_1) | instid1(VALU_DEP_3)
	v_fma_f64 v[114:115], v[203:204], s[20:21], -v[102:103]
	v_fma_f64 v[102:103], v[203:204], s[20:21], v[102:103]
	v_fma_f64 v[118:119], v[207:208], s[20:21], v[116:117]
	s_delay_alu instid0(VALU_DEP_3) | instskip(NEXT) | instid1(VALU_DEP_3)
	v_add_f64_e32 v[114:115], v[114:115], v[146:147]
	v_add_f64_e32 v[102:103], v[102:103], v[112:113]
	v_fma_f64 v[112:113], v[207:208], s[20:21], -v[116:117]
	v_fma_f64 v[116:117], v[211:212], s[28:29], v[120:121]
	v_mul_f64_e32 v[146:147], s[30:31], v[225:226]
	v_add_f64_e32 v[118:119], v[118:119], v[177:178]
	v_add_f64_e32 v[114:115], v[122:123], v[114:115]
	v_mul_f64_e32 v[122:123], s[34:35], v[213:214]
	v_add_f64_e32 v[112:113], v[112:113], v[140:141]
	v_add_f64_e32 v[102:103], v[116:117], v[102:103]
	v_mul_f64_e32 v[177:178], s[24:25], v[225:226]
	s_delay_alu instid0(VALU_DEP_4) | instskip(SKIP_3) | instid1(VALU_DEP_3)
	v_fma_f64 v[136:137], v[215:216], s[28:29], v[122:123]
	v_fma_f64 v[116:117], v[215:216], s[28:29], -v[122:123]
	s_wait_alu 0xfffe
	v_mul_f64_e32 v[122:123], s[16:17], v[209:210]
	v_add_f64_e32 v[118:119], v[136:137], v[118:119]
	v_fma_f64 v[136:137], v[219:220], s[14:15], -v[142:143]
	s_delay_alu instid0(VALU_DEP_4) | instskip(SKIP_1) | instid1(VALU_DEP_3)
	v_add_f64_e32 v[112:113], v[116:117], v[112:113]
	v_fma_f64 v[116:117], v[219:220], s[14:15], v[142:143]
	v_add_f64_e32 v[114:115], v[136:137], v[114:115]
	v_fma_f64 v[136:137], v[223:224], s[14:15], v[144:145]
	s_delay_alu instid0(VALU_DEP_3) | instskip(SKIP_2) | instid1(VALU_DEP_4)
	v_add_f64_e32 v[102:103], v[116:117], v[102:103]
	v_fma_f64 v[116:117], v[223:224], s[14:15], -v[144:145]
	v_mul_f64_e32 v[144:145], s[22:23], v[217:218]
	v_add_f64_e32 v[118:119], v[136:137], v[118:119]
	v_fma_f64 v[136:137], v[227:228], s[10:11], -v[146:147]
	s_delay_alu instid0(VALU_DEP_4) | instskip(SKIP_2) | instid1(VALU_DEP_4)
	v_add_f64_e32 v[116:117], v[116:117], v[112:113]
	v_fma_f64 v[112:113], v[227:228], s[10:11], v[146:147]
	v_mul_f64_e32 v[146:147], s[22:23], v[221:222]
	v_add_f64_e32 v[136:137], v[136:137], v[114:115]
	v_mul_f64_e32 v[114:115], s[30:31], v[229:230]
	s_delay_alu instid0(VALU_DEP_4) | instskip(SKIP_1) | instid1(VALU_DEP_3)
	v_add_f64_e32 v[112:113], v[112:113], v[102:103]
	v_mul_f64_e32 v[102:103], s[34:35], v[100:101]
	v_fma_f64 v[138:139], v[231:232], s[10:11], v[114:115]
	v_fma_f64 v[114:115], v[231:232], s[10:11], -v[114:115]
	s_delay_alu instid0(VALU_DEP_2) | instskip(NEXT) | instid1(VALU_DEP_2)
	v_add_f64_e32 v[138:139], v[138:139], v[118:119]
	v_add_f64_e32 v[114:115], v[114:115], v[116:117]
	v_fma_f64 v[116:117], v[203:204], s[28:29], -v[102:103]
	v_mul_f64_e32 v[118:119], s[34:35], v[205:206]
	v_fma_f64 v[102:103], v[203:204], s[28:29], v[102:103]
	s_delay_alu instid0(VALU_DEP_3) | instskip(SKIP_1) | instid1(VALU_DEP_4)
	v_add_f64_e32 v[116:117], v[116:117], v[128:129]
	v_fma_f64 v[128:129], v[211:212], s[2:3], -v[122:123]
	v_fma_f64 v[120:121], v[207:208], s[28:29], v[118:119]
	s_delay_alu instid0(VALU_DEP_4)
	v_add_f64_e32 v[102:103], v[102:103], v[181:182]
	v_fma_f64 v[118:119], v[207:208], s[28:29], -v[118:119]
	v_mul_f64_e32 v[181:182], s[26:27], v[221:222]
	v_add_f64_e32 v[116:117], v[128:129], v[116:117]
	v_mul_f64_e32 v[128:129], s[16:17], v[213:214]
	v_add_f64_e32 v[120:121], v[120:121], v[179:180]
	v_add_f64_e32 v[118:119], v[118:119], v[191:192]
	v_mul_f64_e32 v[179:180], s[26:27], v[217:218]
	v_mul_f64_e32 v[191:192], s[16:17], v[221:222]
	v_fma_f64 v[140:141], v[215:216], s[2:3], v[128:129]
	s_delay_alu instid0(VALU_DEP_1) | instskip(SKIP_1) | instid1(VALU_DEP_1)
	v_add_f64_e32 v[120:121], v[140:141], v[120:121]
	v_fma_f64 v[140:141], v[219:220], s[10:11], -v[144:145]
	v_add_f64_e32 v[116:117], v[140:141], v[116:117]
	v_fma_f64 v[140:141], v[223:224], s[10:11], v[146:147]
	s_delay_alu instid0(VALU_DEP_1) | instskip(SKIP_1) | instid1(VALU_DEP_1)
	v_add_f64_e32 v[120:121], v[140:141], v[120:121]
	v_fma_f64 v[140:141], v[227:228], s[20:21], -v[177:178]
	v_add_f64_e32 v[140:141], v[140:141], v[116:117]
	v_mul_f64_e32 v[116:117], s[24:25], v[229:230]
	s_delay_alu instid0(VALU_DEP_1) | instskip(NEXT) | instid1(VALU_DEP_1)
	v_fma_f64 v[142:143], v[231:232], s[20:21], v[116:117]
	v_add_f64_e32 v[142:143], v[142:143], v[120:121]
	v_fma_f64 v[120:121], v[211:212], s[2:3], v[122:123]
	v_fma_f64 v[122:123], v[231:232], s[20:21], -v[116:117]
	s_delay_alu instid0(VALU_DEP_2) | instskip(SKIP_1) | instid1(VALU_DEP_1)
	v_add_f64_e32 v[102:103], v[120:121], v[102:103]
	v_fma_f64 v[120:121], v[215:216], s[2:3], -v[128:129]
	v_add_f64_e32 v[118:119], v[120:121], v[118:119]
	v_fma_f64 v[120:121], v[219:220], s[10:11], v[144:145]
	s_delay_alu instid0(VALU_DEP_1) | instskip(SKIP_1) | instid1(VALU_DEP_1)
	v_add_f64_e32 v[102:103], v[120:121], v[102:103]
	v_fma_f64 v[120:121], v[223:224], s[10:11], -v[146:147]
	v_add_f64_e32 v[118:119], v[120:121], v[118:119]
	v_fma_f64 v[120:121], v[227:228], s[20:21], v[177:178]
	v_mul_f64_e32 v[177:178], s[22:23], v[213:214]
	s_delay_alu instid0(VALU_DEP_3) | instskip(NEXT) | instid1(VALU_DEP_3)
	v_add_f64_e32 v[118:119], v[122:123], v[118:119]
	v_add_f64_e32 v[116:117], v[120:121], v[102:103]
	v_mul_f64_e32 v[102:103], s[36:37], v[100:101]
	v_mul_f64_e32 v[122:123], s[36:37], v[205:206]
	s_delay_alu instid0(VALU_DEP_2) | instskip(NEXT) | instid1(VALU_DEP_2)
	v_fma_f64 v[120:121], v[203:204], s[14:15], -v[102:103]
	v_fma_f64 v[128:129], v[207:208], s[14:15], v[122:123]
	v_fma_f64 v[102:103], v[203:204], s[14:15], v[102:103]
	v_fma_f64 v[122:123], v[207:208], s[14:15], -v[122:123]
	s_delay_alu instid0(VALU_DEP_4)
	v_add_f64_e32 v[120:121], v[120:121], v[130:131]
	v_mul_f64_e32 v[130:131], s[22:23], v[209:210]
	v_add_f64_e32 v[128:129], v[128:129], v[183:184]
	v_mul_f64_e32 v[183:184], s[16:17], v[225:226]
	v_add_f64_e32 v[102:103], v[102:103], v[193:194]
	v_add_f64_e32 v[122:123], v[122:123], v[195:196]
	v_mul_f64_e32 v[193:194], s[18:19], v[225:226]
	v_mul_f64_e32 v[195:196], s[18:19], v[229:230]
	v_fma_f64 v[144:145], v[211:212], s[10:11], -v[130:131]
	s_delay_alu instid0(VALU_DEP_1) | instskip(SKIP_1) | instid1(VALU_DEP_1)
	v_add_f64_e32 v[120:121], v[144:145], v[120:121]
	v_fma_f64 v[144:145], v[215:216], s[10:11], v[177:178]
	v_add_f64_e32 v[128:129], v[144:145], v[128:129]
	v_fma_f64 v[144:145], v[219:220], s[28:29], -v[179:180]
	s_delay_alu instid0(VALU_DEP_1) | instskip(SKIP_1) | instid1(VALU_DEP_1)
	v_add_f64_e32 v[120:121], v[144:145], v[120:121]
	v_fma_f64 v[144:145], v[223:224], s[28:29], v[181:182]
	v_add_f64_e32 v[128:129], v[144:145], v[128:129]
	v_fma_f64 v[144:145], v[227:228], s[2:3], -v[183:184]
	s_delay_alu instid0(VALU_DEP_1) | instskip(SKIP_1) | instid1(VALU_DEP_1)
	v_add_f64_e32 v[144:145], v[144:145], v[120:121]
	v_mul_f64_e32 v[120:121], s[16:17], v[229:230]
	v_fma_f64 v[146:147], v[231:232], s[2:3], v[120:121]
	s_delay_alu instid0(VALU_DEP_1) | instskip(SKIP_2) | instid1(VALU_DEP_2)
	v_add_f64_e32 v[146:147], v[146:147], v[128:129]
	v_fma_f64 v[128:129], v[211:212], s[10:11], v[130:131]
	v_fma_f64 v[130:131], v[231:232], s[2:3], -v[120:121]
	v_add_f64_e32 v[102:103], v[128:129], v[102:103]
	v_fma_f64 v[128:129], v[215:216], s[10:11], -v[177:178]
	v_mul_f64_e32 v[177:178], s[30:31], v[100:101]
	s_delay_alu instid0(VALU_DEP_2) | instskip(SKIP_1) | instid1(VALU_DEP_3)
	v_add_f64_e32 v[122:123], v[128:129], v[122:123]
	v_fma_f64 v[128:129], v[219:220], s[28:29], v[179:180]
	v_fma_f64 v[100:101], v[203:204], s[10:11], -v[177:178]
	v_mul_f64_e32 v[179:180], s[30:31], v[205:206]
	s_delay_alu instid0(VALU_DEP_3) | instskip(SKIP_3) | instid1(VALU_DEP_3)
	v_add_f64_e32 v[102:103], v[128:129], v[102:103]
	v_fma_f64 v[128:129], v[223:224], s[28:29], -v[181:182]
	v_mul_f64_e32 v[181:182], s[24:25], v[209:210]
	v_add_f64_e32 v[100:101], v[100:101], v[197:198]
	v_add_f64_e32 v[122:123], v[128:129], v[122:123]
	v_fma_f64 v[128:129], v[227:228], s[2:3], v[183:184]
	v_mul_f64_e32 v[183:184], s[24:25], v[213:214]
	s_delay_alu instid0(VALU_DEP_3) | instskip(NEXT) | instid1(VALU_DEP_3)
	v_add_f64_e32 v[122:123], v[130:131], v[122:123]
	v_add_f64_e32 v[120:121], v[128:129], v[102:103]
	v_fma_f64 v[102:103], v[207:208], s[10:11], v[179:180]
	v_fma_f64 v[128:129], v[211:212], s[20:21], -v[181:182]
	s_delay_alu instid0(VALU_DEP_2) | instskip(NEXT) | instid1(VALU_DEP_2)
	v_add_f64_e32 v[102:103], v[102:103], v[185:186]
	v_add_f64_e32 v[100:101], v[128:129], v[100:101]
	v_fma_f64 v[128:129], v[215:216], s[20:21], v[183:184]
	v_mul_f64_e32 v[185:186], s[16:17], v[217:218]
	s_delay_alu instid0(VALU_DEP_2) | instskip(NEXT) | instid1(VALU_DEP_2)
	v_add_f64_e32 v[102:103], v[128:129], v[102:103]
	v_fma_f64 v[128:129], v[219:220], s[2:3], -v[185:186]
	s_delay_alu instid0(VALU_DEP_1) | instskip(SKIP_1) | instid1(VALU_DEP_1)
	v_add_f64_e32 v[100:101], v[128:129], v[100:101]
	v_fma_f64 v[128:129], v[223:224], s[2:3], v[191:192]
	v_add_f64_e32 v[102:103], v[128:129], v[102:103]
	v_fma_f64 v[128:129], v[227:228], s[14:15], -v[193:194]
	s_delay_alu instid0(VALU_DEP_1) | instskip(SKIP_1) | instid1(VALU_DEP_1)
	v_add_f64_e32 v[128:129], v[128:129], v[100:101]
	v_fma_f64 v[100:101], v[231:232], s[14:15], v[195:196]
	v_add_f64_e32 v[130:131], v[100:101], v[102:103]
	v_add_f64_e32 v[100:101], v[187:188], v[152:153]
	;; [unrolled: 1-line block ×3, first 2 shown]
	s_delay_alu instid0(VALU_DEP_2) | instskip(NEXT) | instid1(VALU_DEP_2)
	v_add_f64_e32 v[100:101], v[100:101], v[156:157]
	v_add_f64_e32 v[102:103], v[102:103], v[158:159]
	s_delay_alu instid0(VALU_DEP_2) | instskip(NEXT) | instid1(VALU_DEP_2)
	v_add_f64_e32 v[100:101], v[100:101], v[169:170]
	v_add_f64_e32 v[102:103], v[102:103], v[171:172]
	;; [unrolled: 3-line block ×3, first 2 shown]
	v_fma_f64 v[104:105], v[203:204], s[10:11], v[177:178]
	s_delay_alu instid0(VALU_DEP_3) | instskip(NEXT) | instid1(VALU_DEP_3)
	v_add_f64_e32 v[100:101], v[100:101], v[106:107]
	v_add_f64_e32 v[102:103], v[102:103], v[175:176]
	v_fma_f64 v[106:107], v[207:208], s[10:11], -v[179:180]
	s_delay_alu instid0(VALU_DEP_4) | instskip(NEXT) | instid1(VALU_DEP_4)
	v_add_f64_e32 v[104:105], v[104:105], v[199:200]
	v_add_f64_e32 v[100:101], v[100:101], v[164:165]
	s_delay_alu instid0(VALU_DEP_4) | instskip(NEXT) | instid1(VALU_DEP_4)
	v_add_f64_e32 v[102:103], v[102:103], v[166:167]
	v_add_f64_e32 v[106:107], v[106:107], v[201:202]
	s_delay_alu instid0(VALU_DEP_3) | instskip(NEXT) | instid1(VALU_DEP_3)
	v_add_f64_e32 v[100:101], v[100:101], v[162:163]
	v_add_f64_e32 v[102:103], v[102:103], v[160:161]
	s_delay_alu instid0(VALU_DEP_2) | instskip(NEXT) | instid1(VALU_DEP_2)
	v_add_f64_e32 v[100:101], v[100:101], v[150:151]
	v_add_f64_e32 v[102:103], v[102:103], v[148:149]
	v_fma_f64 v[148:149], v[219:220], s[2:3], v[185:186]
	v_fma_f64 v[150:151], v[223:224], s[2:3], -v[191:192]
	s_delay_alu instid0(VALU_DEP_4) | instskip(NEXT) | instid1(VALU_DEP_4)
	v_add_f64_e32 v[100:101], v[100:101], v[134:135]
	v_add_f64_e32 v[102:103], v[102:103], v[132:133]
	v_fma_f64 v[132:133], v[211:212], s[20:21], v[181:182]
	v_fma_f64 v[134:135], v[215:216], s[20:21], -v[183:184]
	s_delay_alu instid0(VALU_DEP_2) | instskip(NEXT) | instid1(VALU_DEP_2)
	v_add_f64_e32 v[104:105], v[132:133], v[104:105]
	v_add_f64_e32 v[106:107], v[134:135], v[106:107]
	v_fma_f64 v[132:133], v[227:228], s[14:15], v[193:194]
	v_fma_f64 v[134:135], v[231:232], s[14:15], -v[195:196]
	s_delay_alu instid0(VALU_DEP_4) | instskip(NEXT) | instid1(VALU_DEP_4)
	v_add_f64_e32 v[104:105], v[148:149], v[104:105]
	v_add_f64_e32 v[106:107], v[150:151], v[106:107]
	s_delay_alu instid0(VALU_DEP_2) | instskip(NEXT) | instid1(VALU_DEP_2)
	v_add_f64_e32 v[132:133], v[132:133], v[104:105]
	v_add_f64_e32 v[134:135], v[134:135], v[106:107]
	s_and_saveexec_b32 s1, s0
	s_cbranch_execz .LBB0_11
; %bb.10:
	ds_store_b128 v255, v[100:103]
	ds_store_b128 v255, v[124:127] offset:2720
	ds_store_b128 v255, v[136:139] offset:5440
	;; [unrolled: 1-line block ×10, first 2 shown]
.LBB0_11:
	s_wait_alu 0xfffe
	s_or_b32 exec_lo, exec_lo, s1
	global_wb scope:SCOPE_SE
	s_wait_storecnt_dscnt 0x0
	s_barrier_signal -1
	s_barrier_wait -1
	global_inv scope:SCOPE_SE
	s_and_saveexec_b32 s1, vcc_lo
	s_cbranch_execz .LBB0_13
; %bb.12:
	global_load_b128 v[104:107], v255, s[8:9] offset:29920
	s_add_nc_u64 s[2:3], s[8:9], 0x74e0
	s_clause 0x8
	global_load_b128 v[148:151], v255, s[2:3] offset:1760
	global_load_b128 v[152:155], v255, s[2:3] offset:3520
	;; [unrolled: 1-line block ×9, first 2 shown]
	ds_load_b128 v[185:188], v255
	global_load_b128 v[189:192], v255, s[2:3] offset:17600
	ds_load_b128 v[193:196], v255 offset:1760
	ds_load_b128 v[197:200], v255 offset:28160
	s_wait_loadcnt_dscnt 0x901
	v_mul_f64_e32 v[205:206], v[195:196], v[150:151]
	v_mul_f64_e32 v[150:151], v[193:194], v[150:151]
	;; [unrolled: 1-line block ×4, first 2 shown]
	s_delay_alu instid0(VALU_DEP_4) | instskip(NEXT) | instid1(VALU_DEP_4)
	v_fma_f64 v[193:194], v[193:194], v[148:149], -v[205:206]
	v_fma_f64 v[195:196], v[195:196], v[148:149], v[150:151]
	s_delay_alu instid0(VALU_DEP_4) | instskip(NEXT) | instid1(VALU_DEP_4)
	v_fma_f64 v[185:186], v[185:186], v[104:105], -v[201:202]
	v_fma_f64 v[187:188], v[187:188], v[104:105], v[106:107]
	ds_load_b128 v[104:107], v255 offset:3520
	ds_load_b128 v[201:204], v255 offset:5280
	s_wait_loadcnt_dscnt 0x801
	v_mul_f64_e32 v[148:149], v[106:107], v[154:155]
	v_mul_f64_e32 v[150:151], v[104:105], v[154:155]
	s_wait_loadcnt_dscnt 0x700
	v_mul_f64_e32 v[205:206], v[203:204], v[158:159]
	v_mul_f64_e32 v[158:159], v[201:202], v[158:159]
	s_delay_alu instid0(VALU_DEP_4) | instskip(NEXT) | instid1(VALU_DEP_4)
	v_fma_f64 v[104:105], v[104:105], v[152:153], -v[148:149]
	v_fma_f64 v[106:107], v[106:107], v[152:153], v[150:151]
	ds_load_b128 v[148:151], v255 offset:7040
	ds_load_b128 v[152:155], v255 offset:8800
	v_fma_f64 v[201:202], v[201:202], v[156:157], -v[205:206]
	v_fma_f64 v[203:204], v[203:204], v[156:157], v[158:159]
	s_wait_loadcnt_dscnt 0x601
	v_mul_f64_e32 v[156:157], v[150:151], v[162:163]
	v_mul_f64_e32 v[158:159], v[148:149], v[162:163]
	s_wait_loadcnt_dscnt 0x500
	v_mul_f64_e32 v[205:206], v[154:155], v[166:167]
	v_mul_f64_e32 v[166:167], v[152:153], v[166:167]
	s_delay_alu instid0(VALU_DEP_4) | instskip(NEXT) | instid1(VALU_DEP_4)
	v_fma_f64 v[148:149], v[148:149], v[160:161], -v[156:157]
	v_fma_f64 v[150:151], v[150:151], v[160:161], v[158:159]
	ds_load_b128 v[156:159], v255 offset:10560
	ds_load_b128 v[160:163], v255 offset:12320
	v_fma_f64 v[152:153], v[152:153], v[164:165], -v[205:206]
	v_fma_f64 v[154:155], v[154:155], v[164:165], v[166:167]
	;; [unrolled: 13-line block ×3, first 2 shown]
	s_wait_loadcnt_dscnt 0x201
	v_mul_f64_e32 v[173:174], v[166:167], v[179:180]
	v_mul_f64_e32 v[175:176], v[164:165], v[179:180]
	s_wait_loadcnt_dscnt 0x100
	v_mul_f64_e32 v[205:206], v[171:172], v[183:184]
	v_mul_f64_e32 v[183:184], v[169:170], v[183:184]
	s_delay_alu instid0(VALU_DEP_4) | instskip(NEXT) | instid1(VALU_DEP_4)
	v_fma_f64 v[164:165], v[164:165], v[177:178], -v[173:174]
	v_fma_f64 v[166:167], v[166:167], v[177:178], v[175:176]
	ds_load_b128 v[177:180], v255 offset:17600
	global_load_b128 v[173:176], v255, s[2:3] offset:19360
	v_fma_f64 v[169:170], v[169:170], v[181:182], -v[205:206]
	v_fma_f64 v[171:172], v[171:172], v[181:182], v[183:184]
	ds_load_b128 v[181:184], v255 offset:19360
	s_wait_loadcnt_dscnt 0x101
	v_mul_f64_e32 v[205:206], v[179:180], v[191:192]
	v_mul_f64_e32 v[191:192], v[177:178], v[191:192]
	s_delay_alu instid0(VALU_DEP_2) | instskip(NEXT) | instid1(VALU_DEP_2)
	v_fma_f64 v[177:178], v[177:178], v[189:190], -v[205:206]
	v_fma_f64 v[179:180], v[179:180], v[189:190], v[191:192]
	global_load_b128 v[189:192], v255, s[2:3] offset:21120
	s_wait_loadcnt_dscnt 0x100
	v_mul_f64_e32 v[205:206], v[183:184], v[175:176]
	v_mul_f64_e32 v[175:176], v[181:182], v[175:176]
	s_delay_alu instid0(VALU_DEP_2) | instskip(NEXT) | instid1(VALU_DEP_2)
	v_fma_f64 v[181:182], v[181:182], v[173:174], -v[205:206]
	v_fma_f64 v[183:184], v[183:184], v[173:174], v[175:176]
	ds_load_b128 v[173:176], v255 offset:21120
	ds_load_b128 v[205:208], v255 offset:22880
	s_wait_loadcnt_dscnt 0x1
	v_mul_f64_e32 v[209:210], v[175:176], v[191:192]
	v_mul_f64_e32 v[191:192], v[173:174], v[191:192]
	s_delay_alu instid0(VALU_DEP_2) | instskip(NEXT) | instid1(VALU_DEP_2)
	v_fma_f64 v[173:174], v[173:174], v[189:190], -v[209:210]
	v_fma_f64 v[175:176], v[175:176], v[189:190], v[191:192]
	s_clause 0x1
	global_load_b128 v[189:192], v255, s[2:3] offset:22880
	global_load_b128 v[209:212], v255, s[2:3] offset:24640
	s_wait_loadcnt_dscnt 0x100
	v_mul_f64_e32 v[213:214], v[207:208], v[191:192]
	v_mul_f64_e32 v[191:192], v[205:206], v[191:192]
	s_delay_alu instid0(VALU_DEP_2) | instskip(NEXT) | instid1(VALU_DEP_2)
	v_fma_f64 v[205:206], v[205:206], v[189:190], -v[213:214]
	v_fma_f64 v[207:208], v[207:208], v[189:190], v[191:192]
	ds_load_b128 v[189:192], v255 offset:24640
	ds_load_b128 v[213:216], v255 offset:26400
	s_wait_loadcnt_dscnt 0x1
	v_mul_f64_e32 v[217:218], v[191:192], v[211:212]
	v_mul_f64_e32 v[211:212], v[189:190], v[211:212]
	s_delay_alu instid0(VALU_DEP_2) | instskip(NEXT) | instid1(VALU_DEP_2)
	v_fma_f64 v[189:190], v[189:190], v[209:210], -v[217:218]
	v_fma_f64 v[191:192], v[191:192], v[209:210], v[211:212]
	s_clause 0x1
	global_load_b128 v[209:212], v255, s[2:3] offset:26400
	global_load_b128 v[217:220], v255, s[2:3] offset:28160
	s_wait_loadcnt_dscnt 0x100
	v_mul_f64_e32 v[221:222], v[215:216], v[211:212]
	v_mul_f64_e32 v[223:224], v[213:214], v[211:212]
	s_delay_alu instid0(VALU_DEP_2) | instskip(NEXT) | instid1(VALU_DEP_2)
	v_fma_f64 v[211:212], v[213:214], v[209:210], -v[221:222]
	v_fma_f64 v[213:214], v[215:216], v[209:210], v[223:224]
	s_wait_loadcnt 0x0
	v_mul_f64_e32 v[209:210], v[199:200], v[219:220]
	v_mul_f64_e32 v[215:216], v[197:198], v[219:220]
	s_delay_alu instid0(VALU_DEP_2) | instskip(NEXT) | instid1(VALU_DEP_2)
	v_fma_f64 v[197:198], v[197:198], v[217:218], -v[209:210]
	v_fma_f64 v[199:200], v[199:200], v[217:218], v[215:216]
	ds_store_b128 v255, v[185:188]
	ds_store_b128 v255, v[193:196] offset:1760
	ds_store_b128 v255, v[104:107] offset:3520
	;; [unrolled: 1-line block ×16, first 2 shown]
.LBB0_13:
	s_wait_alu 0xfffe
	s_or_b32 exec_lo, exec_lo, s1
	global_wb scope:SCOPE_SE
	s_wait_dscnt 0x0
	s_barrier_signal -1
	s_barrier_wait -1
	global_inv scope:SCOPE_SE
	s_and_saveexec_b32 s1, vcc_lo
	s_cbranch_execz .LBB0_15
; %bb.14:
	ds_load_b128 v[100:103], v255
	ds_load_b128 v[124:127], v255 offset:1760
	ds_load_b128 v[136:139], v255 offset:3520
	;; [unrolled: 1-line block ×16, first 2 shown]
.LBB0_15:
	s_wait_alu 0xfffe
	s_or_b32 exec_lo, exec_lo, s1
	s_wait_dscnt 0x0
	v_add_f64_e64 v[213:214], v[126:127], -v[2:3]
	s_mov_b32 s16, 0x4363dd80
	s_mov_b32 s17, 0xbfe0d888
	v_add_f64_e32 v[211:212], v[124:125], v[0:1]
	v_add_f64_e64 v[24:25], v[138:139], -v[6:7]
	s_mov_b32 s2, 0x910ea3b9
	s_mov_b32 s20, 0x7c9e640b
	;; [unrolled: 1-line block ×4, first 2 shown]
	v_add_f64_e32 v[148:149], v[136:137], v[4:5]
	v_add_f64_e32 v[229:230], v[126:127], v[2:3]
	s_mov_b32 s10, 0x2b2883cd
	s_mov_b32 s11, 0x3fdc86fa
	v_add_f64_e64 v[239:240], v[124:125], -v[0:1]
	v_add_f64_e32 v[150:151], v[138:139], v[6:7]
	v_add_f64_e64 v[181:182], v[136:137], -v[4:5]
	v_add_f64_e64 v[26:27], v[142:143], -v[10:11]
	s_mov_b32 s26, 0xeb564b22
	s_mov_b32 s27, 0xbfefdd0d
	s_mov_b32 s14, 0x3259b75e
	s_mov_b32 s15, 0x3fb79ee6
	v_add_f64_e64 v[185:186], v[140:141], -v[8:9]
	v_add_f64_e64 v[28:29], v[146:147], -v[14:15]
	s_mov_b32 s40, 0x6c9a05f6
	s_mov_b32 s41, 0x3fe9895b
	s_mov_b32 s18, 0x6ed5f1bb
	s_mov_b32 s19, 0xbfe348c8
	;; [unrolled: 6-line block ×3, first 2 shown]
	v_add_f64_e64 v[193:194], v[128:129], -v[16:17]
	v_add_f64_e64 v[32:33], v[134:135], -v[22:23]
	s_mov_b32 s36, 0xacd6c6b4
	s_mov_b32 s37, 0xbfc7851a
	;; [unrolled: 1-line block ×3, first 2 shown]
	s_wait_alu 0xfffe
	v_mul_f64_e32 v[219:220], s[16:17], v[213:214]
	s_mov_b32 s25, 0xbfef7484
	v_add_f64_e64 v[197:198], v[132:133], -v[20:21]
	v_add_f64_e64 v[36:37], v[122:123], -v[110:111]
	v_mul_f64_e32 v[38:39], s[20:21], v[24:25]
	s_mov_b32 s38, 0x2a9d6da3
	s_mov_b32 s39, 0x3fe58eea
	;; [unrolled: 1-line block ×4, first 2 shown]
	v_add_f64_e64 v[201:202], v[120:121], -v[108:109]
	v_mul_f64_e32 v[48:49], s[2:3], v[229:230]
	v_add_f64_e64 v[34:35], v[118:119], -v[114:115]
	s_mov_b32 s42, 0x923c349f
	s_mov_b32 s43, 0xbfeec746
	v_mul_f64_e32 v[40:41], s[10:11], v[150:151]
	s_mov_b32 s30, 0xc61f0d01
	v_mul_f64_e32 v[42:43], s[26:27], v[26:27]
	s_mov_b32 s31, 0xbfd183b1
	v_add_f64_e64 v[203:204], v[116:117], -v[112:113]
	global_wb scope:SCOPE_SE
	s_barrier_signal -1
	s_barrier_wait -1
	v_mul_f64_e32 v[217:218], s[40:41], v[28:29]
	global_inv scope:SCOPE_SE
	v_mul_f64_e32 v[223:224], s[34:35], v[30:31]
	v_mul_f64_e32 v[225:226], s[36:37], v[32:33]
	v_fma_f64 v[104:105], v[211:212], s[2:3], -v[219:220]
	s_wait_alu 0xfffe
	v_mul_f64_e32 v[231:232], s[38:39], v[36:37]
	v_fma_f64 v[106:107], v[148:149], s[10:11], -v[38:39]
	v_mul_f64_e32 v[235:236], s[42:43], v[34:35]
	v_fma_f64 v[152:153], v[181:182], s[20:21], v[40:41]
	v_add_f64_e32 v[104:105], v[100:101], v[104:105]
	s_delay_alu instid0(VALU_DEP_1) | instskip(SKIP_1) | instid1(VALU_DEP_1)
	v_add_f64_e32 v[104:105], v[106:107], v[104:105]
	v_fma_f64 v[106:107], v[239:240], s[16:17], v[48:49]
	v_add_f64_e32 v[106:107], v[102:103], v[106:107]
	s_delay_alu instid0(VALU_DEP_1) | instskip(SKIP_1) | instid1(VALU_DEP_1)
	v_add_f64_e32 v[106:107], v[152:153], v[106:107]
	v_add_f64_e32 v[152:153], v[140:141], v[8:9]
	v_fma_f64 v[154:155], v[152:153], s[14:15], -v[42:43]
	s_delay_alu instid0(VALU_DEP_1) | instskip(SKIP_1) | instid1(VALU_DEP_1)
	v_add_f64_e32 v[104:105], v[154:155], v[104:105]
	v_add_f64_e32 v[154:155], v[142:143], v[10:11]
	v_mul_f64_e32 v[215:216], s[14:15], v[154:155]
	s_delay_alu instid0(VALU_DEP_1) | instskip(NEXT) | instid1(VALU_DEP_1)
	v_fma_f64 v[156:157], v[185:186], s[26:27], v[215:216]
	v_add_f64_e32 v[106:107], v[156:157], v[106:107]
	v_add_f64_e32 v[156:157], v[144:145], v[12:13]
	s_delay_alu instid0(VALU_DEP_1) | instskip(NEXT) | instid1(VALU_DEP_1)
	v_fma_f64 v[158:159], v[156:157], s[18:19], -v[217:218]
	v_add_f64_e32 v[104:105], v[158:159], v[104:105]
	v_add_f64_e32 v[158:159], v[146:147], v[14:15]
	s_delay_alu instid0(VALU_DEP_1) | instskip(NEXT) | instid1(VALU_DEP_1)
	v_mul_f64_e32 v[221:222], s[18:19], v[158:159]
	v_fma_f64 v[160:161], v[189:190], s[40:41], v[221:222]
	s_delay_alu instid0(VALU_DEP_1) | instskip(SKIP_1) | instid1(VALU_DEP_1)
	v_add_f64_e32 v[106:107], v[160:161], v[106:107]
	v_add_f64_e32 v[160:161], v[128:129], v[16:17]
	v_fma_f64 v[162:163], v[160:161], s[22:23], -v[223:224]
	s_delay_alu instid0(VALU_DEP_1) | instskip(SKIP_1) | instid1(VALU_DEP_1)
	v_add_f64_e32 v[104:105], v[162:163], v[104:105]
	v_add_f64_e32 v[162:163], v[130:131], v[18:19]
	v_mul_f64_e32 v[227:228], s[22:23], v[162:163]
	s_delay_alu instid0(VALU_DEP_1) | instskip(NEXT) | instid1(VALU_DEP_1)
	v_fma_f64 v[164:165], v[193:194], s[34:35], v[227:228]
	v_add_f64_e32 v[106:107], v[164:165], v[106:107]
	v_add_f64_e32 v[164:165], v[132:133], v[20:21]
	s_delay_alu instid0(VALU_DEP_1) | instskip(NEXT) | instid1(VALU_DEP_1)
	v_fma_f64 v[169:170], v[164:165], s[24:25], -v[225:226]
	v_add_f64_e32 v[104:105], v[169:170], v[104:105]
	v_add_f64_e32 v[169:170], v[134:135], v[22:23]
	s_delay_alu instid0(VALU_DEP_1) | instskip(NEXT) | instid1(VALU_DEP_1)
	v_mul_f64_e32 v[233:234], s[24:25], v[169:170]
	v_fma_f64 v[171:172], v[197:198], s[36:37], v[233:234]
	;; [unrolled: 19-line block ×3, first 2 shown]
	s_delay_alu instid0(VALU_DEP_1)
	v_add_f64_e32 v[106:107], v[246:247], v[106:107]
	s_and_saveexec_b32 s1, vcc_lo
	s_cbranch_execz .LBB0_17
; %bb.16:
	v_add_f64_e32 v[126:127], v[102:103], v[126:127]
	v_add_f64_e32 v[124:125], v[100:101], v[124:125]
	s_mov_b32 s51, 0xbfeca52d
	s_mov_b32 s50, s20
	;; [unrolled: 1-line block ×9, first 2 shown]
	s_wait_alu 0xfffe
	v_mul_f64_e32 v[64:65], s[50:51], v[30:31]
	v_mul_f64_e32 v[207:208], s[52:53], v[203:204]
	;; [unrolled: 1-line block ×19, first 2 shown]
	v_add_f64_e32 v[126:127], v[126:127], v[138:139]
	v_add_f64_e32 v[124:125], v[124:125], v[136:137]
	v_fma_f64 v[66:67], v[160:161], s[10:11], v[64:65]
	v_fma_f64 v[74:75], v[164:165], s[2:3], v[72:73]
	v_fma_f64 v[70:71], v[169:170], s[2:3], -v[68:69]
	v_fma_f64 v[78:79], v[171:172], s[18:19], v[76:77]
	v_fma_f64 v[86:87], v[173:174], s[22:23], -v[84:85]
	;; [unrolled: 2-line block ×3, first 2 shown]
	v_fma_f64 v[80:81], v[164:165], s[14:15], -v[80:81]
	v_fma_f64 v[94:95], v[173:174], s[24:25], v[92:93]
	v_fma_f64 v[98:99], v[177:178], s[10:11], v[96:97]
	v_add_f64_e32 v[126:127], v[126:127], v[142:143]
	v_add_f64_e32 v[124:125], v[124:125], v[140:141]
	s_delay_alu instid0(VALU_DEP_2) | instskip(NEXT) | instid1(VALU_DEP_2)
	v_add_f64_e32 v[126:127], v[126:127], v[146:147]
	v_add_f64_e32 v[124:125], v[124:125], v[144:145]
	s_delay_alu instid0(VALU_DEP_2) | instskip(NEXT) | instid1(VALU_DEP_2)
	v_add_f64_e32 v[126:127], v[126:127], v[130:131]
	v_add_f64_e32 v[124:125], v[124:125], v[128:129]
	v_mul_f64_e32 v[130:131], s[50:51], v[213:214]
	v_mul_f64_e32 v[128:129], s[44:45], v[213:214]
	s_delay_alu instid0(VALU_DEP_4) | instskip(NEXT) | instid1(VALU_DEP_4)
	v_add_f64_e32 v[126:127], v[126:127], v[134:135]
	v_add_f64_e32 v[124:125], v[124:125], v[132:133]
	v_mul_f64_e32 v[132:133], s[46:47], v[213:214]
	v_fma_f64 v[144:145], v[211:212], s[10:11], v[130:131]
	v_fma_f64 v[130:131], v[211:212], s[10:11], -v[130:131]
	v_fma_f64 v[142:143], v[211:212], s[18:19], -v[128:129]
	v_fma_f64 v[128:129], v[211:212], s[18:19], v[128:129]
	v_add_f64_e32 v[122:123], v[126:127], v[122:123]
	v_add_f64_e32 v[120:121], v[124:125], v[120:121]
	v_mul_f64_e32 v[126:127], s[34:35], v[213:214]
	v_mul_f64_e32 v[124:125], s[26:27], v[213:214]
	v_fma_f64 v[146:147], v[211:212], s[28:29], v[132:133]
	v_fma_f64 v[132:133], v[211:212], s[28:29], -v[132:133]
	v_add_f64_e32 v[142:143], v[100:101], v[142:143]
	v_add_f64_e32 v[128:129], v[100:101], v[128:129]
	;; [unrolled: 1-line block ×5, first 2 shown]
	v_fma_f64 v[140:141], v[211:212], s[22:23], v[126:127]
	v_fma_f64 v[126:127], v[211:212], s[22:23], -v[126:127]
	v_mul_f64_e32 v[120:121], s[36:37], v[213:214]
	v_mul_f64_e32 v[122:123], s[42:43], v[213:214]
	v_fma_f64 v[138:139], v[211:212], s[14:15], -v[124:125]
	v_fma_f64 v[124:125], v[211:212], s[14:15], v[124:125]
	v_add_f64_e32 v[146:147], v[100:101], v[146:147]
	v_add_f64_e32 v[114:115], v[118:119], v[114:115]
	;; [unrolled: 1-line block ×4, first 2 shown]
	v_fma_f64 v[134:135], v[211:212], s[24:25], -v[120:121]
	v_fma_f64 v[120:121], v[211:212], s[24:25], v[120:121]
	v_fma_f64 v[136:137], v[211:212], s[30:31], -v[122:123]
	v_fma_f64 v[122:123], v[211:212], s[30:31], v[122:123]
	v_add_f64_e32 v[138:139], v[100:101], v[138:139]
	v_add_f64_e32 v[124:125], v[100:101], v[124:125]
	;; [unrolled: 1-line block ×10, first 2 shown]
	s_delay_alu instid0(VALU_DEP_2) | instskip(NEXT) | instid1(VALU_DEP_2)
	v_add_f64_e32 v[18:19], v[22:23], v[18:19]
	v_add_f64_e32 v[16:17], v[20:21], v[16:17]
	v_mul_f64_e32 v[20:21], s[46:47], v[239:240]
	s_delay_alu instid0(VALU_DEP_3) | instskip(NEXT) | instid1(VALU_DEP_3)
	v_add_f64_e32 v[14:15], v[18:19], v[14:15]
	v_add_f64_e32 v[12:13], v[16:17], v[12:13]
	v_mul_f64_e32 v[18:19], s[50:51], v[239:240]
	v_mul_f64_e32 v[16:17], s[44:45], v[239:240]
	v_fma_f64 v[118:119], v[229:230], s[28:29], -v[20:21]
	v_fma_f64 v[20:21], v[229:230], s[28:29], v[20:21]
	v_add_f64_e32 v[10:11], v[14:15], v[10:11]
	v_add_f64_e32 v[8:9], v[12:13], v[8:9]
	v_mul_f64_e32 v[14:15], s[34:35], v[239:240]
	v_fma_f64 v[116:117], v[229:230], s[10:11], -v[18:19]
	v_fma_f64 v[18:19], v[229:230], s[10:11], v[18:19]
	v_fma_f64 v[114:115], v[229:230], s[18:19], v[16:17]
	v_fma_f64 v[16:17], v[229:230], s[18:19], -v[16:17]
	v_mul_f64_e32 v[12:13], s[26:27], v[239:240]
	v_add_f64_e32 v[246:247], v[102:103], v[118:119]
	v_add_f64_e32 v[6:7], v[10:11], v[6:7]
	;; [unrolled: 1-line block ×3, first 2 shown]
	v_fma_f64 v[112:113], v[229:230], s[22:23], -v[14:15]
	v_fma_f64 v[14:15], v[229:230], s[22:23], v[14:15]
	v_mul_f64_e32 v[10:11], s[42:43], v[239:240]
	v_mul_f64_e32 v[8:9], s[36:37], v[239:240]
	v_fma_f64 v[110:111], v[229:230], s[14:15], v[12:13]
	v_fma_f64 v[12:13], v[229:230], s[14:15], -v[12:13]
	v_add_f64_e32 v[2:3], v[6:7], v[2:3]
	v_add_f64_e32 v[0:1], v[4:5], v[0:1]
	v_mul_f64_e32 v[4:5], s[16:17], v[239:240]
	v_mul_f64_e32 v[6:7], s[2:3], v[211:212]
	v_fma_f64 v[108:109], v[229:230], s[30:31], v[10:11]
	v_fma_f64 v[10:11], v[229:230], s[30:31], -v[10:11]
	v_fma_f64 v[22:23], v[229:230], s[24:25], v[8:9]
	v_add_f64_e32 v[239:240], v[102:103], v[16:17]
	v_mul_f64_e32 v[16:17], s[48:49], v[24:25]
	v_fma_f64 v[8:9], v[229:230], s[24:25], -v[8:9]
	v_add_f64_e32 v[229:230], v[102:103], v[110:111]
	v_add_f64_e32 v[110:111], v[102:103], v[12:13]
	v_add_f64_e32 v[112:113], v[102:103], v[112:113]
	v_add_f64_e32 v[12:13], v[102:103], v[116:117]
	scratch_store_b128 off, v[0:3], off offset:232 ; 16-byte Folded Spill
	v_add_f64_e32 v[0:1], v[102:103], v[14:15]
	v_add_f64_e64 v[4:5], v[48:49], -v[4:5]
	v_add_f64_e32 v[6:7], v[6:7], v[219:220]
	v_add_f64_e32 v[219:220], v[102:103], v[108:109]
	v_add_f64_e32 v[108:109], v[102:103], v[10:11]
	v_mul_f64_e32 v[10:11], s[48:49], v[181:182]
	v_add_f64_e32 v[22:23], v[102:103], v[22:23]
	v_add_f64_e32 v[8:9], v[102:103], v[8:9]
	v_mul_f64_e32 v[48:49], s[48:49], v[189:190]
	scratch_store_b64 off, v[0:1], off offset:256 ; 8-byte Folded Spill
	v_add_f64_e32 v[0:1], v[100:101], v[126:127]
	v_add_f64_e32 v[211:212], v[102:103], v[4:5]
	;; [unrolled: 1-line block ×3, first 2 shown]
	v_fma_f64 v[6:7], v[148:149], s[22:23], -v[16:17]
	v_fma_f64 v[4:5], v[150:151], s[22:23], v[10:11]
	v_add_f64_e32 v[126:127], v[102:103], v[114:115]
	v_fma_f64 v[10:11], v[150:151], s[22:23], -v[10:11]
	scratch_store_b64 off, v[0:1], off offset:248 ; 8-byte Folded Spill
	v_add_f64_e32 v[0:1], v[102:103], v[18:19]
	v_mul_f64_e32 v[18:19], s[16:17], v[185:186]
	v_add_f64_e32 v[6:7], v[6:7], v[134:135]
	v_add_f64_e32 v[4:5], v[4:5], v[22:23]
	;; [unrolled: 1-line block ×3, first 2 shown]
	v_fma_f64 v[10:11], v[148:149], s[22:23], v[16:17]
	scratch_store_b64 off, v[0:1], off offset:288 ; 8-byte Folded Spill
	v_add_f64_e32 v[0:1], v[100:101], v[130:131]
	v_fma_f64 v[16:17], v[154:155], s[2:3], -v[18:19]
	v_add_f64_e32 v[10:11], v[10:11], v[120:121]
	v_mul_f64_e32 v[120:121], s[24:25], v[164:165]
	scratch_store_b64 off, v[0:1], off offset:280 ; 8-byte Folded Spill
	v_add_f64_e32 v[0:1], v[102:103], v[20:21]
	v_fma_f64 v[20:21], v[154:155], s[2:3], v[18:19]
	v_add_f64_e32 v[8:9], v[16:17], v[8:9]
	v_fma_f64 v[18:19], v[175:176], s[14:15], v[209:210]
	v_add_f64_e32 v[120:121], v[120:121], v[225:226]
	v_mul_f64_e32 v[225:226], s[44:45], v[197:198]
	scratch_store_b64 off, v[0:1], off offset:272 ; 8-byte Folded Spill
	v_add_f64_e32 v[4:5], v[20:21], v[4:5]
	v_mul_f64_e32 v[20:21], s[16:17], v[26:27]
	v_add_f64_e32 v[0:1], v[100:101], v[132:133]
	s_delay_alu instid0(VALU_DEP_2)
	v_fma_f64 v[22:23], v[152:153], s[2:3], -v[20:21]
	v_fma_f64 v[16:17], v[152:153], s[2:3], v[20:21]
	v_mul_f64_e32 v[20:21], s[26:27], v[185:186]
	scratch_store_b64 off, v[0:1], off offset:264 ; 8-byte Folded Spill
	v_add_f64_e32 v[6:7], v[22:23], v[6:7]
	v_mul_f64_e32 v[22:23], s[38:39], v[189:190]
	v_add_f64_e32 v[10:11], v[16:17], v[10:11]
	v_add_f64_e64 v[20:21], v[215:216], -v[20:21]
	v_mul_f64_e32 v[215:216], s[26:27], v[189:190]
	s_delay_alu instid0(VALU_DEP_4) | instskip(SKIP_2) | instid1(VALU_DEP_3)
	v_fma_f64 v[100:101], v[158:159], s[28:29], v[22:23]
	v_fma_f64 v[16:17], v[158:159], s[28:29], -v[22:23]
	v_mul_f64_e32 v[22:23], s[14:15], v[152:153]
	v_add_f64_e32 v[4:5], v[100:101], v[4:5]
	v_mul_f64_e32 v[100:101], s[38:39], v[28:29]
	s_delay_alu instid0(VALU_DEP_4) | instskip(NEXT) | instid1(VALU_DEP_4)
	v_add_f64_e32 v[8:9], v[16:17], v[8:9]
	v_add_f64_e32 v[22:23], v[22:23], v[42:43]
	s_delay_alu instid0(VALU_DEP_3) | instskip(SKIP_2) | instid1(VALU_DEP_3)
	v_fma_f64 v[102:103], v[156:157], s[28:29], -v[100:101]
	v_fma_f64 v[16:17], v[156:157], s[28:29], v[100:101]
	v_mul_f64_e32 v[100:101], s[40:41], v[189:190]
	v_add_f64_e32 v[6:7], v[102:103], v[6:7]
	v_mul_f64_e32 v[102:103], s[44:45], v[193:194]
	s_delay_alu instid0(VALU_DEP_4) | instskip(NEXT) | instid1(VALU_DEP_4)
	v_add_f64_e32 v[10:11], v[16:17], v[10:11]
	v_add_f64_e64 v[100:101], v[221:222], -v[100:101]
	v_mul_f64_e32 v[221:222], s[42:43], v[193:194]
	s_delay_alu instid0(VALU_DEP_4) | instskip(SKIP_2) | instid1(VALU_DEP_3)
	v_fma_f64 v[114:115], v[162:163], s[18:19], v[102:103]
	v_fma_f64 v[16:17], v[162:163], s[18:19], -v[102:103]
	v_mul_f64_e32 v[102:103], s[18:19], v[156:157]
	v_add_f64_e32 v[4:5], v[114:115], v[4:5]
	v_mul_f64_e32 v[114:115], s[44:45], v[30:31]
	s_delay_alu instid0(VALU_DEP_4) | instskip(NEXT) | instid1(VALU_DEP_4)
	v_add_f64_e32 v[8:9], v[16:17], v[8:9]
	v_add_f64_e32 v[102:103], v[102:103], v[217:218]
	v_mul_f64_e32 v[217:218], s[26:27], v[28:29]
	s_delay_alu instid0(VALU_DEP_4) | instskip(SKIP_2) | instid1(VALU_DEP_3)
	v_fma_f64 v[116:117], v[160:161], s[18:19], -v[114:115]
	v_fma_f64 v[16:17], v[160:161], s[18:19], v[114:115]
	v_mul_f64_e32 v[114:115], s[34:35], v[193:194]
	v_add_f64_e32 v[6:7], v[116:117], v[6:7]
	v_mul_f64_e32 v[116:117], s[20:21], v[197:198]
	s_delay_alu instid0(VALU_DEP_4) | instskip(NEXT) | instid1(VALU_DEP_4)
	v_add_f64_e32 v[10:11], v[16:17], v[10:11]
	v_add_f64_e64 v[114:115], v[227:228], -v[114:115]
	v_mul_f64_e32 v[227:228], s[44:45], v[32:33]
	s_delay_alu instid0(VALU_DEP_4) | instskip(SKIP_2) | instid1(VALU_DEP_3)
	v_fma_f64 v[118:119], v[169:170], s[10:11], v[116:117]
	v_fma_f64 v[16:17], v[169:170], s[10:11], -v[116:117]
	v_mul_f64_e32 v[116:117], s[22:23], v[160:161]
	v_add_f64_e32 v[4:5], v[118:119], v[4:5]
	v_mul_f64_e32 v[118:119], s[20:21], v[32:33]
	s_delay_alu instid0(VALU_DEP_4) | instskip(NEXT) | instid1(VALU_DEP_4)
	v_add_f64_e32 v[8:9], v[16:17], v[8:9]
	v_add_f64_e32 v[116:117], v[116:117], v[223:224]
	v_mul_f64_e32 v[223:224], s[42:43], v[30:31]
	s_delay_alu instid0(VALU_DEP_4) | instskip(SKIP_2) | instid1(VALU_DEP_3)
	v_fma_f64 v[130:131], v[164:165], s[10:11], -v[118:119]
	v_fma_f64 v[16:17], v[164:165], s[10:11], v[118:119]
	v_mul_f64_e32 v[118:119], s[36:37], v[197:198]
	v_add_f64_e32 v[6:7], v[130:131], v[6:7]
	v_mul_f64_e32 v[130:131], s[42:43], v[201:202]
	s_delay_alu instid0(VALU_DEP_4) | instskip(NEXT) | instid1(VALU_DEP_4)
	v_add_f64_e32 v[10:11], v[16:17], v[10:11]
	v_add_f64_e64 v[118:119], v[233:234], -v[118:119]
	v_mul_f64_e32 v[233:234], s[16:17], v[36:37]
	s_delay_alu instid0(VALU_DEP_4) | instskip(SKIP_1) | instid1(VALU_DEP_2)
	v_fma_f64 v[132:133], v[173:174], s[30:31], v[130:131]
	v_fma_f64 v[16:17], v[173:174], s[30:31], -v[130:131]
	v_add_f64_e32 v[4:5], v[132:133], v[4:5]
	v_mul_f64_e32 v[132:133], s[42:43], v[36:37]
	s_delay_alu instid0(VALU_DEP_3) | instskip(NEXT) | instid1(VALU_DEP_2)
	v_add_f64_e32 v[8:9], v[16:17], v[8:9]
	v_fma_f64 v[16:17], v[171:172], s[30:31], v[132:133]
	v_fma_f64 v[134:135], v[171:172], s[30:31], -v[132:133]
	v_mul_f64_e32 v[132:133], s[36:37], v[181:182]
	s_delay_alu instid0(VALU_DEP_3) | instskip(SKIP_1) | instid1(VALU_DEP_4)
	v_add_f64_e32 v[16:17], v[16:17], v[10:11]
	v_fma_f64 v[10:11], v[177:178], s[14:15], -v[207:208]
	v_add_f64_e32 v[134:135], v[134:135], v[6:7]
	v_fma_f64 v[6:7], v[177:178], s[14:15], v[207:208]
	v_mul_f64_e32 v[207:208], s[46:47], v[181:182]
	s_delay_alu instid0(VALU_DEP_4)
	v_add_f64_e32 v[10:11], v[10:11], v[8:9]
	v_add_f64_e32 v[8:9], v[18:19], v[16:17]
	v_mul_f64_e32 v[16:17], s[20:21], v[181:182]
	v_mul_f64_e32 v[18:19], s[10:11], v[148:149]
	v_add_f64_e32 v[6:7], v[6:7], v[4:5]
	v_fma_f64 v[4:5], v[175:176], s[14:15], -v[209:210]
	v_mul_f64_e32 v[209:210], s[46:47], v[24:25]
	v_add_f64_e64 v[16:17], v[40:41], -v[16:17]
	v_add_f64_e32 v[18:19], v[18:19], v[38:39]
	v_dual_mov_b32 v38, v248 :: v_dual_mov_b32 v39, v249
	v_add_f64_e32 v[4:5], v[4:5], v[134:135]
	v_mul_f64_e32 v[134:135], s[36:37], v[24:25]
	v_dual_mov_b32 v40, v250 :: v_dual_mov_b32 v41, v251
	v_mul_f64_e32 v[250:251], s[48:49], v[28:29]
	v_add_f64_e32 v[16:17], v[16:17], v[211:212]
	v_add_f64_e32 v[18:19], v[18:19], v[213:214]
	v_mul_f64_e32 v[211:212], s[50:51], v[185:186]
	v_mul_f64_e32 v[213:214], s[50:51], v[26:27]
	s_delay_alu instid0(VALU_DEP_4) | instskip(NEXT) | instid1(VALU_DEP_4)
	v_add_f64_e32 v[16:17], v[20:21], v[16:17]
	v_add_f64_e32 v[18:19], v[22:23], v[18:19]
	v_mul_f64_e32 v[20:21], s[38:39], v[201:202]
	v_mul_f64_e32 v[22:23], s[28:29], v[171:172]
	s_delay_alu instid0(VALU_DEP_4) | instskip(NEXT) | instid1(VALU_DEP_4)
	v_add_f64_e32 v[16:17], v[100:101], v[16:17]
	v_add_f64_e32 v[18:19], v[102:103], v[18:19]
	s_delay_alu instid0(VALU_DEP_4) | instskip(NEXT) | instid1(VALU_DEP_4)
	v_add_f64_e64 v[20:21], v[237:238], -v[20:21]
	v_add_f64_e32 v[22:23], v[22:23], v[231:232]
	v_mul_f64_e32 v[100:101], s[42:43], v[203:204]
	v_mul_f64_e32 v[102:103], s[30:31], v[175:176]
	;; [unrolled: 1-line block ×4, first 2 shown]
	s_mov_b32 s43, 0x3feec746
	s_wait_alu 0xfffe
	v_mul_f64_e32 v[179:180], s[42:43], v[197:198]
	v_mul_f64_e32 v[183:184], s[42:43], v[32:33]
	;; [unrolled: 1-line block ×3, first 2 shown]
	v_add_f64_e32 v[16:17], v[114:115], v[16:17]
	v_add_f64_e32 v[18:19], v[116:117], v[18:19]
	v_mul_f64_e32 v[114:115], s[38:39], v[185:186]
	v_add_f64_e64 v[100:101], v[241:242], -v[100:101]
	v_add_f64_e32 v[102:103], v[102:103], v[235:236]
	v_mul_f64_e32 v[235:236], s[36:37], v[203:204]
	v_mul_f64_e32 v[241:242], s[42:43], v[26:27]
	v_fma_f64 v[2:3], v[156:157], s[30:31], v[0:1]
	v_fma_f64 v[0:1], v[156:157], s[30:31], -v[0:1]
	v_add_f64_e32 v[16:17], v[118:119], v[16:17]
	v_add_f64_e32 v[18:19], v[120:121], v[18:19]
	v_fma_f64 v[116:117], v[154:155], s[28:29], -v[114:115]
	s_delay_alu instid0(VALU_DEP_3) | instskip(NEXT) | instid1(VALU_DEP_3)
	v_add_f64_e32 v[16:17], v[20:21], v[16:17]
	v_add_f64_e32 v[20:21], v[22:23], v[18:19]
	v_fma_f64 v[22:23], v[148:149], s[28:29], v[209:210]
	s_delay_alu instid0(VALU_DEP_3) | instskip(NEXT) | instid1(VALU_DEP_3)
	v_add_f64_e32 v[18:19], v[100:101], v[16:17]
	v_add_f64_e32 v[16:17], v[102:103], v[20:21]
	v_fma_f64 v[20:21], v[150:151], s[28:29], -v[207:208]
	v_fma_f64 v[100:101], v[154:155], s[10:11], -v[211:212]
	v_add_f64_e32 v[22:23], v[22:23], v[140:141]
	v_mul_f64_e32 v[140:141], s[42:43], v[185:186]
	v_fma_f64 v[102:103], v[148:149], s[24:25], v[134:135]
	v_add_f64_e32 v[20:21], v[20:21], v[112:113]
	s_delay_alu instid0(VALU_DEP_2) | instskip(NEXT) | instid1(VALU_DEP_2)
	v_add_f64_e32 v[102:103], v[102:103], v[124:125]
	v_add_f64_e32 v[20:21], v[100:101], v[20:21]
	v_fma_f64 v[100:101], v[152:153], s[10:11], v[213:214]
	s_delay_alu instid0(VALU_DEP_1) | instskip(SKIP_1) | instid1(VALU_DEP_1)
	v_add_f64_e32 v[22:23], v[100:101], v[22:23]
	v_fma_f64 v[100:101], v[158:159], s[14:15], -v[215:216]
	v_add_f64_e32 v[20:21], v[100:101], v[20:21]
	v_fma_f64 v[100:101], v[156:157], s[14:15], v[217:218]
	s_delay_alu instid0(VALU_DEP_1) | instskip(SKIP_1) | instid1(VALU_DEP_1)
	v_add_f64_e32 v[22:23], v[100:101], v[22:23]
	v_fma_f64 v[100:101], v[162:163], s[30:31], -v[221:222]
	v_add_f64_e32 v[20:21], v[100:101], v[20:21]
	v_fma_f64 v[100:101], v[160:161], s[30:31], v[223:224]
	s_delay_alu instid0(VALU_DEP_1) | instskip(SKIP_1) | instid1(VALU_DEP_1)
	v_add_f64_e32 v[22:23], v[100:101], v[22:23]
	v_fma_f64 v[100:101], v[169:170], s[18:19], -v[225:226]
	v_add_f64_e32 v[20:21], v[100:101], v[20:21]
	v_fma_f64 v[100:101], v[164:165], s[18:19], v[227:228]
	s_delay_alu instid0(VALU_DEP_1) | instskip(SKIP_1) | instid1(VALU_DEP_1)
	v_add_f64_e32 v[22:23], v[100:101], v[22:23]
	v_fma_f64 v[100:101], v[173:174], s[2:3], -v[231:232]
	v_add_f64_e32 v[20:21], v[100:101], v[20:21]
	v_fma_f64 v[100:101], v[171:172], s[2:3], v[233:234]
	s_delay_alu instid0(VALU_DEP_1) | instskip(SKIP_1) | instid1(VALU_DEP_1)
	v_add_f64_e32 v[100:101], v[100:101], v[22:23]
	v_fma_f64 v[22:23], v[177:178], s[24:25], -v[235:236]
	v_add_f64_e32 v[22:23], v[22:23], v[20:21]
	v_fma_f64 v[20:21], v[175:176], s[24:25], v[237:238]
	s_delay_alu instid0(VALU_DEP_1) | instskip(SKIP_1) | instid1(VALU_DEP_1)
	v_add_f64_e32 v[20:21], v[20:21], v[100:101]
	v_fma_f64 v[100:101], v[150:151], s[24:25], -v[132:133]
	v_add_f64_e32 v[100:101], v[100:101], v[110:111]
	v_fma_f64 v[110:111], v[154:155], s[30:31], -v[140:141]
	s_delay_alu instid0(VALU_DEP_1) | instskip(SKIP_1) | instid1(VALU_DEP_1)
	v_add_f64_e32 v[100:101], v[110:111], v[100:101]
	v_fma_f64 v[110:111], v[152:153], s[30:31], v[241:242]
	v_add_f64_e32 v[102:103], v[110:111], v[102:103]
	v_fma_f64 v[110:111], v[158:159], s[22:23], -v[48:49]
	s_delay_alu instid0(VALU_DEP_1) | instskip(SKIP_1) | instid1(VALU_DEP_1)
	v_add_f64_e32 v[100:101], v[110:111], v[100:101]
	v_fma_f64 v[110:111], v[156:157], s[22:23], v[250:251]
	v_add_f64_e32 v[102:103], v[110:111], v[102:103]
	v_fma_f64 v[110:111], v[162:163], s[10:11], -v[252:253]
	s_delay_alu instid0(VALU_DEP_2) | instskip(NEXT) | instid1(VALU_DEP_2)
	v_add_f64_e32 v[66:67], v[66:67], v[102:103]
	v_add_f64_e32 v[100:101], v[110:111], v[100:101]
	s_delay_alu instid0(VALU_DEP_2) | instskip(SKIP_1) | instid1(VALU_DEP_3)
	v_add_f64_e32 v[66:67], v[74:75], v[66:67]
	v_mul_f64_e32 v[74:75], s[40:41], v[201:202]
	v_add_f64_e32 v[70:71], v[70:71], v[100:101]
	s_mov_b32 s41, 0x3fe0d888
	s_mov_b32 s40, s16
	v_mul_f64_e32 v[201:202], s[26:27], v[201:202]
	s_wait_alu 0xfffe
	v_mul_f64_e32 v[112:113], s[40:41], v[24:25]
	v_mul_f64_e32 v[248:249], s[40:41], v[193:194]
	;; [unrolled: 1-line block ×3, first 2 shown]
	v_add_f64_e32 v[66:67], v[78:79], v[66:67]
	v_fma_f64 v[100:101], v[173:174], s[18:19], -v[74:75]
	v_mul_f64_e32 v[78:79], s[38:39], v[203:204]
	s_delay_alu instid0(VALU_DEP_2) | instskip(NEXT) | instid1(VALU_DEP_2)
	v_add_f64_e32 v[70:71], v[100:101], v[70:71]
	v_fma_f64 v[100:101], v[177:178], s[28:29], -v[78:79]
	s_delay_alu instid0(VALU_DEP_1) | instskip(SKIP_1) | instid1(VALU_DEP_1)
	v_add_f64_e32 v[102:103], v[100:101], v[70:71]
	v_mul_f64_e32 v[70:71], s[38:39], v[34:35]
	v_fma_f64 v[100:101], v[175:176], s[28:29], v[70:71]
	s_delay_alu instid0(VALU_DEP_1) | instskip(SKIP_1) | instid1(VALU_DEP_1)
	v_add_f64_e32 v[100:101], v[100:101], v[66:67]
	v_mul_f64_e32 v[66:67], s[40:41], v[181:182]
	v_fma_f64 v[110:111], v[150:151], s[2:3], -v[66:67]
	v_fma_f64 v[66:67], v[150:151], s[2:3], v[66:67]
	s_delay_alu instid0(VALU_DEP_2) | instskip(SKIP_1) | instid1(VALU_DEP_3)
	v_add_f64_e32 v[108:109], v[110:111], v[108:109]
	v_fma_f64 v[110:111], v[148:149], s[2:3], v[112:113]
	v_add_f64_e32 v[66:67], v[66:67], v[219:220]
	v_mul_f64_e32 v[219:220], s[46:47], v[32:33]
	s_delay_alu instid0(VALU_DEP_4) | instskip(SKIP_2) | instid1(VALU_DEP_2)
	v_add_f64_e32 v[108:109], v[116:117], v[108:109]
	v_mul_f64_e32 v[116:117], s[38:39], v[26:27]
	v_add_f64_e32 v[110:111], v[110:111], v[122:123]
	v_fma_f64 v[118:119], v[152:153], s[28:29], v[116:117]
	s_delay_alu instid0(VALU_DEP_1) | instskip(SKIP_1) | instid1(VALU_DEP_1)
	v_add_f64_e32 v[110:111], v[118:119], v[110:111]
	v_mul_f64_e32 v[118:119], s[50:51], v[189:190]
	v_fma_f64 v[120:121], v[158:159], s[10:11], -v[118:119]
	s_delay_alu instid0(VALU_DEP_1) | instskip(SKIP_1) | instid1(VALU_DEP_1)
	v_add_f64_e32 v[108:109], v[120:121], v[108:109]
	v_mul_f64_e32 v[120:121], s[50:51], v[28:29]
	v_fma_f64 v[122:123], v[156:157], s[10:11], v[120:121]
	s_delay_alu instid0(VALU_DEP_1) | instskip(SKIP_1) | instid1(VALU_DEP_1)
	v_add_f64_e32 v[110:111], v[122:123], v[110:111]
	v_mul_f64_e32 v[122:123], s[36:37], v[193:194]
	v_fma_f64 v[124:125], v[162:163], s[24:25], -v[122:123]
	s_delay_alu instid0(VALU_DEP_1) | instskip(SKIP_1) | instid1(VALU_DEP_1)
	v_add_f64_e32 v[108:109], v[124:125], v[108:109]
	v_mul_f64_e32 v[124:125], s[36:37], v[30:31]
	v_fma_f64 v[130:131], v[160:161], s[24:25], v[124:125]
	s_delay_alu instid0(VALU_DEP_1) | instskip(SKIP_1) | instid1(VALU_DEP_2)
	v_add_f64_e32 v[110:111], v[130:131], v[110:111]
	v_mul_f64_e32 v[130:131], s[52:53], v[197:198]
	v_add_f64_e32 v[82:83], v[82:83], v[110:111]
	s_delay_alu instid0(VALU_DEP_2) | instskip(NEXT) | instid1(VALU_DEP_1)
	v_fma_f64 v[14:15], v[169:170], s[14:15], -v[130:131]
	v_add_f64_e32 v[14:15], v[14:15], v[108:109]
	s_delay_alu instid0(VALU_DEP_1) | instskip(SKIP_1) | instid1(VALU_DEP_2)
	v_add_f64_e32 v[14:15], v[86:87], v[14:15]
	v_mul_f64_e32 v[86:87], s[34:35], v[36:37]
	v_add_f64_e32 v[110:111], v[90:91], v[14:15]
	s_delay_alu instid0(VALU_DEP_2) | instskip(SKIP_1) | instid1(VALU_DEP_2)
	v_fma_f64 v[108:109], v[171:172], s[22:23], v[86:87]
	v_mul_f64_e32 v[14:15], s[44:45], v[34:35]
	v_add_f64_e32 v[82:83], v[108:109], v[82:83]
	s_delay_alu instid0(VALU_DEP_2) | instskip(SKIP_1) | instid1(VALU_DEP_2)
	v_fma_f64 v[90:91], v[175:176], s[18:19], v[14:15]
	v_fma_f64 v[14:15], v[175:176], s[18:19], -v[14:15]
	v_add_f64_e32 v[108:109], v[90:91], v[82:83]
	v_fma_f64 v[82:83], v[148:149], s[2:3], -v[112:113]
	v_fma_f64 v[90:91], v[154:155], s[28:29], v[114:115]
	s_delay_alu instid0(VALU_DEP_2) | instskip(NEXT) | instid1(VALU_DEP_2)
	v_add_f64_e32 v[82:83], v[82:83], v[136:137]
	v_add_f64_e32 v[66:67], v[90:91], v[66:67]
	v_fma_f64 v[90:91], v[152:153], s[28:29], -v[116:117]
	v_mul_f64_e32 v[136:137], s[52:53], v[30:31]
	s_delay_alu instid0(VALU_DEP_2) | instskip(SKIP_1) | instid1(VALU_DEP_1)
	v_add_f64_e32 v[82:83], v[90:91], v[82:83]
	v_fma_f64 v[90:91], v[158:159], s[10:11], v[118:119]
	v_add_f64_e32 v[66:67], v[90:91], v[66:67]
	v_fma_f64 v[90:91], v[156:157], s[10:11], -v[120:121]
	s_delay_alu instid0(VALU_DEP_1) | instskip(SKIP_1) | instid1(VALU_DEP_1)
	v_add_f64_e32 v[82:83], v[90:91], v[82:83]
	v_fma_f64 v[90:91], v[162:163], s[24:25], v[122:123]
	v_add_f64_e32 v[66:67], v[90:91], v[66:67]
	v_fma_f64 v[90:91], v[160:161], s[24:25], -v[124:125]
	s_delay_alu instid0(VALU_DEP_1) | instskip(SKIP_3) | instid1(VALU_DEP_4)
	v_add_f64_e32 v[82:83], v[90:91], v[82:83]
	v_fma_f64 v[90:91], v[169:170], s[14:15], v[130:131]
	v_mul_f64_e32 v[130:131], s[52:53], v[193:194]
	v_mul_f64_e32 v[193:194], s[38:39], v[193:194]
	v_add_f64_e32 v[80:81], v[80:81], v[82:83]
	s_delay_alu instid0(VALU_DEP_4) | instskip(SKIP_2) | instid1(VALU_DEP_2)
	v_add_f64_e32 v[66:67], v[90:91], v[66:67]
	v_fma_f64 v[82:83], v[173:174], s[22:23], v[84:85]
	v_mul_f64_e32 v[84:85], s[34:35], v[185:186]
	v_add_f64_e32 v[66:67], v[82:83], v[66:67]
	v_fma_f64 v[82:83], v[171:172], s[22:23], -v[86:87]
	s_delay_alu instid0(VALU_DEP_3) | instskip(NEXT) | instid1(VALU_DEP_2)
	v_fma_f64 v[86:87], v[154:155], s[22:23], v[84:85]
	v_add_f64_e32 v[80:81], v[82:83], v[80:81]
	v_fma_f64 v[82:83], v[177:178], s[18:19], v[88:89]
	s_delay_alu instid0(VALU_DEP_2) | instskip(SKIP_1) | instid1(VALU_DEP_3)
	v_add_f64_e32 v[112:113], v[14:15], v[80:81]
	v_mul_f64_e32 v[14:15], s[42:43], v[181:182]
	v_add_f64_e32 v[114:115], v[82:83], v[66:67]
	v_mul_f64_e32 v[80:81], s[42:43], v[24:25]
	s_delay_alu instid0(VALU_DEP_3) | instskip(NEXT) | instid1(VALU_DEP_2)
	v_fma_f64 v[66:67], v[150:151], s[30:31], v[14:15]
	v_fma_f64 v[82:83], v[148:149], s[30:31], -v[80:81]
	s_delay_alu instid0(VALU_DEP_2) | instskip(NEXT) | instid1(VALU_DEP_2)
	v_add_f64_e32 v[66:67], v[66:67], v[126:127]
	v_add_f64_e32 v[82:83], v[82:83], v[142:143]
	v_mul_f64_e32 v[142:143], s[46:47], v[197:198]
	s_delay_alu instid0(VALU_DEP_3) | instskip(SKIP_1) | instid1(VALU_DEP_1)
	v_add_f64_e32 v[66:67], v[86:87], v[66:67]
	v_mul_f64_e32 v[86:87], s[34:35], v[26:27]
	v_fma_f64 v[88:89], v[152:153], s[22:23], -v[86:87]
	s_delay_alu instid0(VALU_DEP_1) | instskip(SKIP_2) | instid1(VALU_DEP_2)
	v_add_f64_e32 v[82:83], v[88:89], v[82:83]
	v_mul_f64_e32 v[88:89], s[16:17], v[189:190]
	v_mul_f64_e32 v[189:190], s[42:43], v[189:190]
	v_fma_f64 v[90:91], v[158:159], s[2:3], v[88:89]
	s_delay_alu instid0(VALU_DEP_1) | instskip(SKIP_2) | instid1(VALU_DEP_2)
	v_add_f64_e32 v[66:67], v[90:91], v[66:67]
	v_mul_f64_e32 v[90:91], s[16:17], v[28:29]
	v_mul_f64_e32 v[28:29], s[26:27], v[36:37]
	v_fma_f64 v[116:117], v[156:157], s[2:3], -v[90:91]
	s_delay_alu instid0(VALU_DEP_1) | instskip(SKIP_1) | instid1(VALU_DEP_1)
	v_add_f64_e32 v[82:83], v[116:117], v[82:83]
	v_fma_f64 v[116:117], v[162:163], s[14:15], v[130:131]
	v_add_f64_e32 v[66:67], v[116:117], v[66:67]
	v_fma_f64 v[116:117], v[160:161], s[14:15], -v[136:137]
	s_delay_alu instid0(VALU_DEP_1) | instskip(SKIP_1) | instid1(VALU_DEP_1)
	v_add_f64_e32 v[82:83], v[116:117], v[82:83]
	v_fma_f64 v[116:117], v[169:170], s[28:29], v[142:143]
	v_add_f64_e32 v[66:67], v[116:117], v[66:67]
	v_fma_f64 v[116:117], v[164:165], s[28:29], -v[219:220]
	s_delay_alu instid0(VALU_DEP_2) | instskip(SKIP_1) | instid1(VALU_DEP_3)
	v_add_f64_e32 v[66:67], v[94:95], v[66:67]
	v_mul_f64_e32 v[94:95], s[36:37], v[36:37]
	v_add_f64_e32 v[82:83], v[116:117], v[82:83]
	s_mov_b32 s37, 0x3fc7851a
	s_delay_alu instid0(VALU_DEP_3) | instskip(NEXT) | instid1(VALU_DEP_3)
	v_add_f64_e32 v[118:119], v[98:99], v[66:67]
	v_fma_f64 v[116:117], v[171:172], s[24:25], -v[94:95]
	v_mul_f64_e32 v[66:67], s[20:21], v[34:35]
	s_delay_alu instid0(VALU_DEP_2) | instskip(NEXT) | instid1(VALU_DEP_2)
	v_add_f64_e32 v[82:83], v[116:117], v[82:83]
	v_fma_f64 v[98:99], v[175:176], s[10:11], -v[66:67]
	v_fma_f64 v[66:67], v[175:176], s[10:11], v[66:67]
	s_delay_alu instid0(VALU_DEP_2) | instskip(SKIP_2) | instid1(VALU_DEP_2)
	v_add_f64_e32 v[116:117], v[98:99], v[82:83]
	v_mul_f64_e32 v[82:83], s[26:27], v[181:182]
	v_mul_f64_e32 v[181:182], s[44:45], v[181:182]
	v_fma_f64 v[98:99], v[150:151], s[14:15], -v[82:83]
	s_delay_alu instid0(VALU_DEP_1) | instskip(SKIP_3) | instid1(VALU_DEP_3)
	v_add_f64_e32 v[98:99], v[98:99], v[246:247]
	v_mul_f64_e32 v[246:247], s[26:27], v[24:25]
	v_mul_f64_e32 v[24:25], s[38:39], v[30:31]
	v_fma_f64 v[30:31], v[171:172], s[14:15], v[28:29]
	v_fma_f64 v[120:121], v[148:149], s[14:15], v[246:247]
	s_delay_alu instid0(VALU_DEP_1) | instskip(SKIP_1) | instid1(VALU_DEP_1)
	v_add_f64_e32 v[120:121], v[120:121], v[146:147]
	v_mul_f64_e32 v[146:147], s[44:45], v[185:186]
	v_fma_f64 v[122:123], v[154:155], s[18:19], -v[146:147]
	s_delay_alu instid0(VALU_DEP_1) | instskip(SKIP_1) | instid1(VALU_DEP_1)
	v_add_f64_e32 v[98:99], v[122:123], v[98:99]
	v_fma_f64 v[122:123], v[152:153], s[18:19], v[166:167]
	v_add_f64_e32 v[120:121], v[122:123], v[120:121]
	v_fma_f64 v[122:123], v[158:159], s[24:25], -v[205:206]
	s_delay_alu instid0(VALU_DEP_1) | instskip(SKIP_1) | instid1(VALU_DEP_1)
	v_add_f64_e32 v[98:99], v[122:123], v[98:99]
	v_fma_f64 v[122:123], v[156:157], s[24:25], v[50:51]
	v_add_f64_e32 v[120:121], v[122:123], v[120:121]
	;; [unrolled: 5-line block ×5, first 2 shown]
	v_fma_f64 v[122:123], v[177:178], s[22:23], -v[195:196]
	s_delay_alu instid0(VALU_DEP_1) | instskip(SKIP_1) | instid1(VALU_DEP_1)
	v_add_f64_e32 v[122:123], v[122:123], v[98:99]
	v_mul_f64_e32 v[98:99], s[48:49], v[34:35]
	v_fma_f64 v[124:125], v[175:176], s[22:23], v[98:99]
	s_delay_alu instid0(VALU_DEP_1) | instskip(SKIP_1) | instid1(VALU_DEP_1)
	v_add_f64_e32 v[120:121], v[124:125], v[120:121]
	v_fma_f64 v[124:125], v[150:151], s[18:19], -v[181:182]
	v_add_f64_e32 v[12:13], v[124:125], v[12:13]
	v_fma_f64 v[124:125], v[148:149], s[18:19], v[199:200]
	s_delay_alu instid0(VALU_DEP_1) | instskip(SKIP_4) | instid1(VALU_DEP_3)
	v_add_f64_e32 v[124:125], v[124:125], v[144:145]
	s_wait_alu 0xfffe
	v_mul_f64_e32 v[144:145], s[36:37], v[185:186]
	v_mul_f64_e32 v[185:186], s[36:37], v[26:27]
	v_fma_f64 v[26:27], v[160:161], s[28:29], v[24:25]
	v_fma_f64 v[126:127], v[154:155], s[24:25], -v[144:145]
	s_delay_alu instid0(VALU_DEP_1) | instskip(NEXT) | instid1(VALU_DEP_4)
	v_add_f64_e32 v[12:13], v[126:127], v[12:13]
	v_fma_f64 v[126:127], v[152:153], s[24:25], v[185:186]
	s_delay_alu instid0(VALU_DEP_1) | instskip(SKIP_1) | instid1(VALU_DEP_2)
	v_add_f64_e32 v[124:125], v[126:127], v[124:125]
	v_fma_f64 v[126:127], v[158:159], s[30:31], -v[189:190]
	v_add_f64_e32 v[2:3], v[2:3], v[124:125]
	s_delay_alu instid0(VALU_DEP_2) | instskip(SKIP_1) | instid1(VALU_DEP_3)
	v_add_f64_e32 v[12:13], v[126:127], v[12:13]
	v_fma_f64 v[124:125], v[162:163], s[28:29], -v[193:194]
	v_add_f64_e32 v[2:3], v[26:27], v[2:3]
	v_mul_f64_e32 v[26:27], s[34:35], v[197:198]
	s_delay_alu instid0(VALU_DEP_3) | instskip(SKIP_1) | instid1(VALU_DEP_3)
	v_add_f64_e32 v[12:13], v[124:125], v[12:13]
	v_mul_f64_e32 v[197:198], s[34:35], v[32:33]
	v_fma_f64 v[124:125], v[169:170], s[22:23], -v[26:27]
	s_delay_alu instid0(VALU_DEP_1) | instskip(NEXT) | instid1(VALU_DEP_3)
	v_add_f64_e32 v[12:13], v[124:125], v[12:13]
	v_fma_f64 v[124:125], v[164:165], s[22:23], v[197:198]
	s_delay_alu instid0(VALU_DEP_1) | instskip(SKIP_1) | instid1(VALU_DEP_2)
	v_add_f64_e32 v[2:3], v[124:125], v[2:3]
	v_fma_f64 v[124:125], v[173:174], s[14:15], -v[201:202]
	v_add_f64_e32 v[2:3], v[30:31], v[2:3]
	v_mul_f64_e32 v[30:31], s[16:17], v[203:204]
	s_delay_alu instid0(VALU_DEP_3) | instskip(SKIP_1) | instid1(VALU_DEP_3)
	v_add_f64_e32 v[12:13], v[124:125], v[12:13]
	v_mul_f64_e32 v[203:204], s[16:17], v[34:35]
	v_fma_f64 v[124:125], v[177:178], s[2:3], -v[30:31]
	s_delay_alu instid0(VALU_DEP_1) | instskip(NEXT) | instid1(VALU_DEP_3)
	v_add_f64_e32 v[126:127], v[124:125], v[12:13]
	v_fma_f64 v[12:13], v[175:176], s[2:3], v[203:204]
	s_delay_alu instid0(VALU_DEP_1) | instskip(SKIP_3) | instid1(VALU_DEP_3)
	v_add_f64_e32 v[124:125], v[12:13], v[2:3]
	v_fma_f64 v[2:3], v[150:151], s[30:31], -v[14:15]
	v_fma_f64 v[12:13], v[148:149], s[30:31], v[80:81]
	v_fma_f64 v[14:15], v[154:155], s[22:23], -v[84:85]
	v_add_f64_e32 v[2:3], v[2:3], v[239:240]
	s_delay_alu instid0(VALU_DEP_3) | instskip(NEXT) | instid1(VALU_DEP_2)
	v_add_f64_e32 v[12:13], v[12:13], v[128:129]
	v_add_f64_e32 v[2:3], v[14:15], v[2:3]
	v_fma_f64 v[14:15], v[152:153], s[22:23], v[86:87]
	s_delay_alu instid0(VALU_DEP_1) | instskip(SKIP_1) | instid1(VALU_DEP_1)
	v_add_f64_e32 v[12:13], v[14:15], v[12:13]
	v_fma_f64 v[14:15], v[158:159], s[2:3], -v[88:89]
	v_add_f64_e32 v[2:3], v[14:15], v[2:3]
	v_fma_f64 v[14:15], v[156:157], s[2:3], v[90:91]
	s_delay_alu instid0(VALU_DEP_1) | instskip(SKIP_1) | instid1(VALU_DEP_1)
	v_add_f64_e32 v[12:13], v[14:15], v[12:13]
	v_fma_f64 v[14:15], v[162:163], s[14:15], -v[130:131]
	;; [unrolled: 5-line block ×4, first 2 shown]
	v_add_f64_e32 v[2:3], v[14:15], v[2:3]
	v_fma_f64 v[14:15], v[171:172], s[24:25], v[94:95]
	s_delay_alu instid0(VALU_DEP_1) | instskip(SKIP_1) | instid1(VALU_DEP_2)
	v_add_f64_e32 v[12:13], v[14:15], v[12:13]
	v_fma_f64 v[14:15], v[177:178], s[10:11], -v[96:97]
	v_add_f64_e32 v[128:129], v[66:67], v[12:13]
	s_delay_alu instid0(VALU_DEP_2) | instskip(SKIP_3) | instid1(VALU_DEP_3)
	v_add_f64_e32 v[130:131], v[14:15], v[2:3]
	v_fma_f64 v[2:3], v[150:151], s[24:25], v[132:133]
	v_fma_f64 v[12:13], v[148:149], s[24:25], -v[134:135]
	v_fma_f64 v[14:15], v[154:155], s[30:31], v[140:141]
	v_add_f64_e32 v[2:3], v[2:3], v[229:230]
	s_delay_alu instid0(VALU_DEP_3) | instskip(NEXT) | instid1(VALU_DEP_2)
	v_add_f64_e32 v[12:13], v[12:13], v[138:139]
	v_add_f64_e32 v[2:3], v[14:15], v[2:3]
	v_fma_f64 v[14:15], v[152:153], s[30:31], -v[241:242]
	s_delay_alu instid0(VALU_DEP_1) | instskip(SKIP_2) | instid1(VALU_DEP_2)
	v_add_f64_e32 v[12:13], v[14:15], v[12:13]
	v_fma_f64 v[14:15], v[158:159], s[22:23], v[48:49]
	v_fma_f64 v[48:49], v[175:176], s[28:29], -v[70:71]
	v_add_f64_e32 v[2:3], v[14:15], v[2:3]
	v_fma_f64 v[14:15], v[156:157], s[22:23], -v[250:251]
	s_delay_alu instid0(VALU_DEP_1) | instskip(SKIP_1) | instid1(VALU_DEP_1)
	v_add_f64_e32 v[12:13], v[14:15], v[12:13]
	v_fma_f64 v[14:15], v[162:163], s[10:11], v[252:253]
	v_add_f64_e32 v[2:3], v[14:15], v[2:3]
	v_fma_f64 v[14:15], v[160:161], s[10:11], -v[64:65]
	s_delay_alu instid0(VALU_DEP_1) | instskip(SKIP_1) | instid1(VALU_DEP_1)
	v_add_f64_e32 v[12:13], v[14:15], v[12:13]
	v_fma_f64 v[14:15], v[169:170], s[2:3], v[68:69]
	;; [unrolled: 5-line block ×3, first 2 shown]
	v_add_f64_e32 v[2:3], v[14:15], v[2:3]
	v_fma_f64 v[14:15], v[171:172], s[18:19], -v[76:77]
	s_delay_alu instid0(VALU_DEP_1) | instskip(SKIP_1) | instid1(VALU_DEP_2)
	v_add_f64_e32 v[12:13], v[14:15], v[12:13]
	v_fma_f64 v[14:15], v[177:178], s[28:29], v[78:79]
	v_add_f64_e32 v[132:133], v[48:49], v[12:13]
	scratch_load_b64 v[12:13], off, off offset:288 th:TH_LOAD_LU ; 8-byte Folded Reload
	v_add_f64_e32 v[134:135], v[14:15], v[2:3]
	scratch_load_b64 v[14:15], off, off offset:280 th:TH_LOAD_LU ; 8-byte Folded Reload
	v_fma_f64 v[2:3], v[150:151], s[18:19], v[181:182]
	s_wait_loadcnt 0x1
	s_delay_alu instid0(VALU_DEP_1) | instskip(SKIP_2) | instid1(VALU_DEP_1)
	v_add_f64_e32 v[2:3], v[2:3], v[12:13]
	v_fma_f64 v[12:13], v[148:149], s[18:19], -v[199:200]
	s_wait_loadcnt 0x0
	v_add_f64_e32 v[12:13], v[12:13], v[14:15]
	v_fma_f64 v[14:15], v[154:155], s[24:25], v[144:145]
	s_delay_alu instid0(VALU_DEP_1) | instskip(SKIP_1) | instid1(VALU_DEP_1)
	v_add_f64_e32 v[2:3], v[14:15], v[2:3]
	v_fma_f64 v[14:15], v[152:153], s[24:25], -v[185:186]
	v_add_f64_e32 v[12:13], v[14:15], v[12:13]
	v_fma_f64 v[14:15], v[158:159], s[30:31], v[189:190]
	s_delay_alu instid0(VALU_DEP_2) | instskip(NEXT) | instid1(VALU_DEP_2)
	v_add_f64_e32 v[0:1], v[0:1], v[12:13]
	v_add_f64_e32 v[2:3], v[14:15], v[2:3]
	v_fma_f64 v[12:13], v[162:163], s[28:29], v[193:194]
	v_fma_f64 v[14:15], v[175:176], s[2:3], -v[203:204]
	s_delay_alu instid0(VALU_DEP_2) | instskip(SKIP_4) | instid1(VALU_DEP_1)
	v_add_f64_e32 v[2:3], v[12:13], v[2:3]
	v_fma_f64 v[12:13], v[160:161], s[28:29], -v[24:25]
	scratch_load_b64 v[24:25], off, off offset:248 th:TH_LOAD_LU ; 8-byte Folded Reload
	v_add_f64_e32 v[0:1], v[12:13], v[0:1]
	v_fma_f64 v[12:13], v[169:170], s[22:23], v[26:27]
	v_add_f64_e32 v[2:3], v[12:13], v[2:3]
	v_fma_f64 v[12:13], v[164:165], s[22:23], -v[197:198]
	s_delay_alu instid0(VALU_DEP_1) | instskip(SKIP_1) | instid1(VALU_DEP_1)
	v_add_f64_e32 v[0:1], v[12:13], v[0:1]
	v_fma_f64 v[12:13], v[173:174], s[14:15], v[201:202]
	v_add_f64_e32 v[2:3], v[12:13], v[2:3]
	v_fma_f64 v[12:13], v[171:172], s[14:15], -v[28:29]
	s_delay_alu instid0(VALU_DEP_1) | instskip(SKIP_1) | instid1(VALU_DEP_2)
	v_add_f64_e32 v[0:1], v[12:13], v[0:1]
	v_fma_f64 v[12:13], v[177:178], s[2:3], v[30:31]
	v_add_f64_e32 v[136:137], v[14:15], v[0:1]
	s_delay_alu instid0(VALU_DEP_2)
	v_add_f64_e32 v[138:139], v[12:13], v[2:3]
	s_clause 0x1
	scratch_load_b64 v[2:3], off, off offset:272 th:TH_LOAD_LU
	scratch_load_b64 v[12:13], off, off offset:264 th:TH_LOAD_LU
	v_fma_f64 v[0:1], v[150:151], s[14:15], v[82:83]
	v_fma_f64 v[14:15], v[175:176], s[22:23], -v[98:99]
	s_wait_loadcnt 0x1
	s_delay_alu instid0(VALU_DEP_2) | instskip(SKIP_2) | instid1(VALU_DEP_1)
	v_add_f64_e32 v[0:1], v[0:1], v[2:3]
	v_fma_f64 v[2:3], v[148:149], s[14:15], -v[246:247]
	s_wait_loadcnt 0x0
	v_add_f64_e32 v[2:3], v[2:3], v[12:13]
	v_fma_f64 v[12:13], v[154:155], s[18:19], v[146:147]
	s_delay_alu instid0(VALU_DEP_1) | instskip(SKIP_1) | instid1(VALU_DEP_1)
	v_add_f64_e32 v[0:1], v[12:13], v[0:1]
	v_fma_f64 v[12:13], v[152:153], s[18:19], -v[166:167]
	v_add_f64_e32 v[2:3], v[12:13], v[2:3]
	v_fma_f64 v[12:13], v[158:159], s[24:25], v[205:206]
	s_delay_alu instid0(VALU_DEP_1) | instskip(SKIP_1) | instid1(VALU_DEP_1)
	v_add_f64_e32 v[0:1], v[12:13], v[0:1]
	v_fma_f64 v[12:13], v[156:157], s[24:25], -v[50:51]
	v_add_f64_e32 v[2:3], v[12:13], v[2:3]
	v_fma_f64 v[12:13], v[162:163], s[2:3], v[248:249]
	v_dual_mov_b32 v251, v41 :: v_dual_mov_b32 v250, v40
	v_dual_mov_b32 v249, v39 :: v_dual_mov_b32 v248, v38
	s_delay_alu instid0(VALU_DEP_3) | instskip(SKIP_1) | instid1(VALU_DEP_1)
	v_add_f64_e32 v[0:1], v[12:13], v[0:1]
	v_fma_f64 v[12:13], v[160:161], s[2:3], -v[243:244]
	v_add_f64_e32 v[2:3], v[12:13], v[2:3]
	v_fma_f64 v[12:13], v[169:170], s[30:31], v[179:180]
	s_delay_alu instid0(VALU_DEP_1) | instskip(SKIP_1) | instid1(VALU_DEP_1)
	v_add_f64_e32 v[0:1], v[12:13], v[0:1]
	v_fma_f64 v[12:13], v[164:165], s[30:31], -v[183:184]
	v_add_f64_e32 v[2:3], v[12:13], v[2:3]
	v_fma_f64 v[12:13], v[173:174], s[10:11], v[187:188]
	s_delay_alu instid0(VALU_DEP_1) | instskip(SKIP_1) | instid1(VALU_DEP_1)
	v_add_f64_e32 v[0:1], v[12:13], v[0:1]
	v_fma_f64 v[12:13], v[171:172], s[10:11], -v[191:192]
	v_add_f64_e32 v[2:3], v[12:13], v[2:3]
	v_fma_f64 v[12:13], v[177:178], s[22:23], v[195:196]
	s_delay_alu instid0(VALU_DEP_2)
	v_add_f64_e32 v[140:141], v[14:15], v[2:3]
	scratch_load_b64 v[14:15], off, off offset:256 th:TH_LOAD_LU ; 8-byte Folded Reload
	v_add_f64_e32 v[142:143], v[12:13], v[0:1]
	v_fma_f64 v[0:1], v[150:151], s[28:29], v[207:208]
	v_fma_f64 v[2:3], v[148:149], s[28:29], -v[209:210]
	v_fma_f64 v[12:13], v[154:155], s[10:11], v[211:212]
	s_delay_alu instid0(VALU_DEP_2) | instskip(SKIP_4) | instid1(VALU_DEP_2)
	v_add_f64_e32 v[2:3], v[2:3], v[24:25]
	v_fma_f64 v[24:25], v[158:159], s[14:15], v[215:216]
	s_wait_loadcnt 0x0
	v_add_f64_e32 v[0:1], v[0:1], v[14:15]
	v_fma_f64 v[14:15], v[152:153], s[10:11], -v[213:214]
	v_add_f64_e32 v[0:1], v[12:13], v[0:1]
	v_fma_f64 v[12:13], v[156:157], s[14:15], -v[217:218]
	s_delay_alu instid0(VALU_DEP_3) | instskip(SKIP_1) | instid1(VALU_DEP_4)
	v_add_f64_e32 v[2:3], v[14:15], v[2:3]
	v_fma_f64 v[14:15], v[162:163], s[30:31], v[221:222]
	v_add_f64_e32 v[0:1], v[24:25], v[0:1]
	v_fma_f64 v[24:25], v[160:161], s[30:31], -v[223:224]
	s_delay_alu instid0(VALU_DEP_4) | instskip(SKIP_1) | instid1(VALU_DEP_4)
	v_add_f64_e32 v[2:3], v[12:13], v[2:3]
	v_fma_f64 v[12:13], v[169:170], s[18:19], v[225:226]
	v_add_f64_e32 v[0:1], v[14:15], v[0:1]
	v_fma_f64 v[14:15], v[164:165], s[18:19], -v[227:228]
	s_delay_alu instid0(VALU_DEP_4) | instskip(SKIP_1) | instid1(VALU_DEP_4)
	;; [unrolled: 5-line block ×3, first 2 shown]
	v_add_f64_e32 v[2:3], v[14:15], v[2:3]
	v_fma_f64 v[14:15], v[177:178], s[24:25], v[235:236]
	v_add_f64_e32 v[0:1], v[24:25], v[0:1]
	v_fma_f64 v[24:25], v[175:176], s[24:25], -v[237:238]
	s_delay_alu instid0(VALU_DEP_4) | instskip(NEXT) | instid1(VALU_DEP_3)
	v_add_f64_e32 v[2:3], v[12:13], v[2:3]
	v_add_f64_e32 v[14:15], v[14:15], v[0:1]
	v_mul_lo_u16 v0, v168, 17
	s_delay_alu instid0(VALU_DEP_3) | instskip(SKIP_2) | instid1(VALU_DEP_1)
	v_add_f64_e32 v[12:13], v[24:25], v[2:3]
	scratch_load_b128 v[24:27], off, off offset:232 th:TH_LOAD_LU ; 16-byte Folded Reload
	v_and_b32_e32 v0, 0xffff, v0
	v_lshlrev_b32_e32 v0, 4, v0
	s_wait_loadcnt 0x0
	ds_store_b128 v0, v[24:27]
	ds_store_b128 v0, v[20:23] offset:16
	ds_store_b128 v0, v[120:123] offset:32
	;; [unrolled: 1-line block ×16, first 2 shown]
.LBB0_17:
	s_wait_alu 0xfffe
	s_or_b32 exec_lo, exec_lo, s1
	global_wb scope:SCOPE_SE
	s_wait_storecnt_dscnt 0x0
	s_barrier_signal -1
	s_barrier_wait -1
	global_inv scope:SCOPE_SE
	ds_load_b128 v[0:3], v255 offset:8976
	ds_load_b128 v[4:7], v255 offset:14960
	;; [unrolled: 1-line block ×9, first 2 shown]
	s_clause 0x3
	scratch_load_b128 v[40:43], off, off offset:56 th:TH_LOAD_LU
	scratch_load_b128 v[36:39], off, off offset:40 th:TH_LOAD_LU
	;; [unrolled: 1-line block ×4, first 2 shown]
	s_mov_b32 s14, 0x134454ff
	s_mov_b32 s15, 0xbfee6f0e
	;; [unrolled: 1-line block ×3, first 2 shown]
	s_wait_alu 0xfffe
	s_mov_b32 s2, s14
	s_mov_b32 s18, 0x4755a5e
	;; [unrolled: 1-line block ×4, first 2 shown]
	s_wait_alu 0xfffe
	s_mov_b32 s10, s18
	s_mov_b32 s16, 0x372fe950
	;; [unrolled: 1-line block ×3, first 2 shown]
	s_wait_dscnt 0x8
	v_mul_f64_e32 v[24:25], v[46:47], v[0:1]
	s_wait_dscnt 0x7
	v_mul_f64_e32 v[26:27], v[58:59], v[4:5]
	;; [unrolled: 2-line block ×5, first 2 shown]
	v_mul_f64_e32 v[46:47], v[46:47], v[2:3]
	v_mul_f64_e32 v[50:51], v[58:59], v[6:7]
	;; [unrolled: 1-line block ×5, first 2 shown]
	s_mov_b32 s20, 0x9b97f4a8
	s_mov_b32 s21, 0x3fe9e377
	;; [unrolled: 1-line block ×4, first 2 shown]
	s_wait_alu 0xfffe
	s_mov_b32 s22, s16
	s_mov_b32 s24, s20
	v_fma_f64 v[24:25], v[44:45], v[2:3], -v[24:25]
	v_fma_f64 v[6:7], v[56:57], v[6:7], -v[26:27]
	;; [unrolled: 1-line block ×5, first 2 shown]
	v_fma_f64 v[44:45], v[44:45], v[0:1], v[46:47]
	v_fma_f64 v[4:5], v[56:57], v[4:5], v[50:51]
	;; [unrolled: 1-line block ×5, first 2 shown]
	v_add_f64_e32 v[0:1], v[6:7], v[10:11]
	v_add_f64_e32 v[46:47], v[24:25], v[14:15]
	v_add_f64_e64 v[60:61], v[24:25], -v[14:15]
	v_add_f64_e64 v[64:65], v[14:15], -v[10:11]
	;; [unrolled: 1-line block ×7, first 2 shown]
	v_fma_f64 v[50:51], v[0:1], -0.5, v[18:19]
	v_fma_f64 v[46:47], v[46:47], -0.5, v[18:19]
	v_add_f64_e32 v[18:19], v[18:19], v[24:25]
	s_delay_alu instid0(VALU_DEP_2)
	v_fma_f64 v[74:75], v[48:49], s[14:15], v[46:47]
	v_fma_f64 v[46:47], v[48:49], s[2:3], v[46:47]
	s_wait_loadcnt_dscnt 0x303
	v_mul_f64_e32 v[2:3], v[42:43], v[22:23]
	v_mul_f64_e32 v[26:27], v[42:43], v[20:21]
	s_wait_loadcnt_dscnt 0x202
	v_mul_f64_e32 v[28:29], v[38:39], v[102:103]
	v_mul_f64_e32 v[30:31], v[38:39], v[100:101]
	s_wait_loadcnt_dscnt 0x101
	v_mul_f64_e32 v[38:39], v[34:35], v[110:111]
	s_wait_loadcnt_dscnt 0x0
	v_mul_f64_e32 v[42:43], v[68:69], v[114:115]
	v_mul_f64_e32 v[34:35], v[34:35], v[108:109]
	;; [unrolled: 1-line block ×3, first 2 shown]
	v_add_f64_e64 v[68:69], v[10:11], -v[14:15]
	v_fma_f64 v[20:21], v[40:41], v[20:21], v[2:3]
	v_fma_f64 v[22:23], v[40:41], v[22:23], -v[26:27]
	v_fma_f64 v[26:27], v[36:37], v[100:101], v[28:29]
	v_fma_f64 v[28:29], v[36:37], v[102:103], -v[30:31]
	v_fma_f64 v[30:31], v[32:33], v[108:109], v[38:39]
	v_fma_f64 v[36:37], v[66:67], v[112:113], v[42:43]
	v_fma_f64 v[32:33], v[32:33], v[110:111], -v[34:35]
	v_fma_f64 v[34:35], v[66:67], v[114:115], -v[62:63]
	v_add_f64_e32 v[38:39], v[4:5], v[8:9]
	v_add_f64_e32 v[40:41], v[44:45], v[12:13]
	v_add_f64_e64 v[42:43], v[44:45], -v[12:13]
	v_add_f64_e64 v[62:63], v[24:25], -v[6:7]
	;; [unrolled: 1-line block ×3, first 2 shown]
	ds_load_b128 v[0:3], v255
	v_add_f64_e32 v[6:7], v[18:19], v[6:7]
	global_wb scope:SCOPE_SE
	s_wait_dscnt 0x0
	s_barrier_signal -1
	s_barrier_wait -1
	global_inv scope:SCOPE_SE
	v_add_f64_e32 v[76:77], v[0:1], v[20:21]
	v_add_f64_e32 v[82:83], v[2:3], v[22:23]
	v_add_f64_e64 v[90:91], v[22:23], -v[28:29]
	v_add_f64_e32 v[52:53], v[26:27], v[30:31]
	v_add_f64_e32 v[54:55], v[20:21], v[36:37]
	;; [unrolled: 1-line block ×4, first 2 shown]
	v_fma_f64 v[38:39], v[38:39], -0.5, v[16:17]
	v_fma_f64 v[40:41], v[40:41], -0.5, v[16:17]
	v_fma_f64 v[72:73], v[42:43], s[2:3], v[50:51]
	v_fma_f64 v[50:51], v[42:43], s[14:15], v[50:51]
	v_add_f64_e64 v[78:79], v[22:23], -v[34:35]
	v_add_f64_e64 v[80:81], v[28:29], -v[32:33]
	v_add_f64_e32 v[16:17], v[16:17], v[44:45]
	v_add_f64_e64 v[44:45], v[4:5], -v[44:45]
	v_add_f64_e64 v[92:93], v[34:35], -v[32:33]
	;; [unrolled: 1-line block ×4, first 2 shown]
	v_add_f64_e32 v[6:7], v[6:7], v[10:11]
	v_add_f64_e32 v[28:29], v[82:83], v[28:29]
	v_fma_f64 v[24:25], v[52:53], -0.5, v[0:1]
	v_add_f64_e64 v[52:53], v[20:21], -v[36:37]
	v_fma_f64 v[0:1], v[54:55], -0.5, v[0:1]
	v_add_f64_e64 v[54:55], v[26:27], -v[30:31]
	v_fma_f64 v[56:57], v[56:57], -0.5, v[2:3]
	v_fma_f64 v[2:3], v[58:59], -0.5, v[2:3]
	v_add_f64_e32 v[58:59], v[62:63], v[64:65]
	v_add_f64_e32 v[62:63], v[66:67], v[68:69]
	v_fma_f64 v[64:65], v[60:61], s[14:15], v[38:39]
	v_fma_f64 v[38:39], v[60:61], s[2:3], v[38:39]
	;; [unrolled: 1-line block ×8, first 2 shown]
	v_add_f64_e64 v[48:49], v[20:21], -v[26:27]
	v_add_f64_e64 v[50:51], v[36:37], -v[30:31]
	v_add_f64_e64 v[20:21], v[26:27], -v[20:21]
	v_add_f64_e64 v[74:75], v[30:31], -v[36:37]
	v_add_f64_e32 v[26:27], v[76:77], v[26:27]
	v_add_f64_e32 v[4:5], v[16:17], v[4:5]
	;; [unrolled: 1-line block ×7, first 2 shown]
	v_fma_f64 v[18:19], v[78:79], s[14:15], v[24:25]
	v_fma_f64 v[24:25], v[78:79], s[2:3], v[24:25]
	;; [unrolled: 1-line block ×16, first 2 shown]
	v_add_f64_e32 v[48:49], v[48:49], v[50:51]
	v_add_f64_e32 v[50:51], v[90:91], v[92:93]
	;; [unrolled: 1-line block ×6, first 2 shown]
	v_fma_f64 v[8:9], v[80:81], s[18:19], v[18:19]
	v_fma_f64 v[10:11], v[80:81], s[10:11], v[24:25]
	;; [unrolled: 1-line block ×12, first 2 shown]
	v_mul_f64_e32 v[44:45], s[18:19], v[60:61]
	v_mul_f64_e32 v[54:55], s[14:15], v[68:69]
	;; [unrolled: 1-line block ×6, first 2 shown]
	s_wait_alu 0xfffe
	v_mul_f64_e32 v[42:43], s[22:23], v[42:43]
	v_mul_f64_e32 v[46:47], s[24:25], v[46:47]
	v_add_f64_e32 v[26:27], v[26:27], v[36:37]
	v_add_f64_e32 v[4:5], v[4:5], v[12:13]
	v_fma_f64 v[34:35], v[48:49], s[16:17], v[8:9]
	v_fma_f64 v[36:37], v[48:49], s[16:17], v[10:11]
	;; [unrolled: 1-line block ×8, first 2 shown]
	v_add_f64_e32 v[2:3], v[28:29], v[6:7]
	v_add_f64_e64 v[18:19], v[28:29], -v[6:7]
	v_fma_f64 v[24:25], v[52:53], s[20:21], v[44:45]
	v_fma_f64 v[32:33], v[38:39], s[16:17], v[54:55]
	;; [unrolled: 1-line block ×8, first 2 shown]
	v_add_f64_e32 v[0:1], v[26:27], v[4:5]
	v_add_f64_e64 v[16:17], v[26:27], -v[4:5]
	v_add_f64_e32 v[8:9], v[34:35], v[24:25]
	v_add_f64_e32 v[4:5], v[48:49], v[32:33]
	v_add_f64_e32 v[12:13], v[64:65], v[44:45]
	v_add_f64_e32 v[20:21], v[36:37], v[54:55]
	v_add_f64_e32 v[10:11], v[66:67], v[52:53]
	v_add_f64_e32 v[6:7], v[30:31], v[38:39]
	v_add_f64_e32 v[14:15], v[68:69], v[40:41]
	v_add_f64_e32 v[22:23], v[50:51], v[42:43]
	v_add_f64_e64 v[24:25], v[34:35], -v[24:25]
	v_add_f64_e64 v[28:29], v[48:49], -v[32:33]
	;; [unrolled: 1-line block ×8, first 2 shown]
	ds_store_b128 v245, v[0:3]
	ds_store_b128 v245, v[8:11] offset:272
	ds_store_b128 v245, v[4:7] offset:544
	;; [unrolled: 1-line block ×9, first 2 shown]
	global_wb scope:SCOPE_SE
	s_wait_dscnt 0x0
	s_barrier_signal -1
	s_barrier_wait -1
	global_inv scope:SCOPE_SE
	s_and_saveexec_b32 s1, s0
	s_cbranch_execz .LBB0_19
; %bb.18:
	ds_load_b128 v[0:3], v255
	ds_load_b128 v[8:11], v255 offset:2720
	ds_load_b128 v[4:7], v255 offset:5440
	;; [unrolled: 1-line block ×10, first 2 shown]
.LBB0_19:
	s_wait_alu 0xfffe
	s_or_b32 exec_lo, exec_lo, s1
	s_and_saveexec_b32 s18, s0
	s_cbranch_execz .LBB0_21
; %bb.20:
	s_clause 0x8
	scratch_load_b128 v[80:83], off, off offset:72 th:TH_LOAD_LU
	scratch_load_b128 v[86:89], off, off offset:104 th:TH_LOAD_LU
	;; [unrolled: 1-line block ×9, first 2 shown]
	s_mov_b32 s24, 0xbb3a28a1
	s_mov_b32 s28, 0xfd768dbf
	;; [unrolled: 1-line block ×11, first 2 shown]
	s_wait_alu 0xfffe
	s_mov_b32 s30, s26
	s_mov_b32 s10, 0x7f775887
	;; [unrolled: 1-line block ×15, first 2 shown]
	s_wait_loadcnt_dscnt 0x809
	v_mul_f64_e32 v[40:41], v[82:83], v[8:9]
	v_mul_f64_e32 v[42:43], v[82:83], v[10:11]
	scratch_load_b128 v[82:85], off, off offset:88 th:TH_LOAD_LU ; 16-byte Folded Reload
	s_wait_loadcnt_dscnt 0x705
	v_mul_f64_e32 v[44:45], v[118:119], v[18:19]
	s_wait_loadcnt_dscnt 0x604
	v_mul_f64_e32 v[46:47], v[122:123], v[26:27]
	v_mul_f64_e32 v[48:49], v[118:119], v[16:17]
	s_wait_loadcnt_dscnt 0x403
	v_mul_f64_e32 v[54:55], v[114:115], v[30:31]
	v_mul_f64_e32 v[58:59], v[114:115], v[28:29]
	s_wait_loadcnt 0x3
	v_mul_f64_e32 v[60:61], v[96:97], v[14:15]
	s_wait_loadcnt_dscnt 0x202
	v_mul_f64_e32 v[62:63], v[100:101], v[34:35]
	v_mul_f64_e32 v[64:65], v[88:89], v[6:7]
	s_wait_loadcnt_dscnt 0x101
	v_mul_f64_e32 v[66:67], v[92:93], v[38:39]
	v_mul_f64_e32 v[70:71], v[96:97], v[12:13]
	;; [unrolled: 1-line block ×8, first 2 shown]
	v_fma_f64 v[40:41], v[80:81], v[10:11], -v[40:41]
	v_fma_f64 v[42:43], v[80:81], v[8:9], v[42:43]
	v_fma_f64 v[44:45], v[116:117], v[16:17], v[44:45]
	;; [unrolled: 1-line block ×3, first 2 shown]
	v_fma_f64 v[46:47], v[116:117], v[18:19], -v[48:49]
	v_fma_f64 v[16:17], v[112:113], v[28:29], v[54:55]
	v_fma_f64 v[18:19], v[112:113], v[30:31], -v[58:59]
	v_fma_f64 v[28:29], v[94:95], v[12:13], v[60:61]
	v_fma_f64 v[12:13], v[98:99], v[32:33], v[62:63]
	;; [unrolled: 1-line block ×4, first 2 shown]
	v_fma_f64 v[32:33], v[94:95], v[14:15], -v[70:71]
	v_fma_f64 v[14:15], v[98:99], v[34:35], -v[72:73]
	;; [unrolled: 1-line block ×5, first 2 shown]
	v_fma_f64 v[20:21], v[108:109], v[20:21], v[52:53]
	v_fma_f64 v[22:23], v[108:109], v[22:23], -v[56:57]
	v_add_f64_e32 v[36:37], v[2:3], v[40:41]
	v_add_f64_e32 v[38:39], v[0:1], v[42:43]
	v_add_f64_e64 v[48:49], v[44:45], -v[24:25]
	v_add_f64_e32 v[74:75], v[44:45], v[24:25]
	v_add_f64_e64 v[52:53], v[28:29], -v[12:13]
	v_add_f64_e64 v[54:55], v[30:31], -v[8:9]
	;; [unrolled: 1-line block ×3, first 2 shown]
	v_add_f64_e32 v[72:73], v[32:33], v[14:15]
	v_add_f64_e64 v[64:65], v[34:35], -v[10:11]
	v_add_f64_e64 v[58:59], v[46:47], -v[26:27]
	;; [unrolled: 1-line block ×4, first 2 shown]
	v_add_f64_e32 v[70:71], v[22:23], v[18:19]
	v_add_f64_e32 v[76:77], v[20:21], v[16:17]
	;; [unrolled: 1-line block ×6, first 2 shown]
	v_mul_f64_e32 v[100:101], s[22:23], v[48:49]
	v_mul_f64_e32 v[80:81], s[20:21], v[48:49]
	;; [unrolled: 1-line block ×6, first 2 shown]
	s_wait_alu 0xfffe
	v_mul_f64_e32 v[140:141], s[36:37], v[52:53]
	v_mul_f64_e32 v[86:87], s[26:27], v[54:55]
	;; [unrolled: 1-line block ×24, first 2 shown]
	v_add_f64_e32 v[32:33], v[36:37], v[32:33]
	v_mul_f64_e32 v[36:37], s[34:35], v[54:55]
	v_fma_f64 v[158:159], v[34:35], s[14:15], v[86:87]
	v_fma_f64 v[86:87], v[34:35], s[14:15], -v[86:87]
	v_fma_f64 v[189:190], v[34:35], s[10:11], v[142:143]
	v_fma_f64 v[169:170], v[30:31], s[14:15], -v[96:97]
	;; [unrolled: 2-line block ×5, first 2 shown]
	v_fma_f64 v[164:165], v[76:77], s[0:1], -v[92:93]
	v_fma_f64 v[92:93], v[76:77], s[0:1], v[92:93]
	v_fma_f64 v[162:163], v[74:75], s[16:17], -v[90:91]
	v_fma_f64 v[90:91], v[74:75], s[16:17], v[90:91]
	v_add_f64_e32 v[22:23], v[32:33], v[22:23]
	s_delay_alu instid0(VALU_DEP_1) | instskip(NEXT) | instid1(VALU_DEP_1)
	v_add_f64_e32 v[22:23], v[22:23], v[46:47]
	v_add_f64_e32 v[22:23], v[22:23], v[26:27]
	s_delay_alu instid0(VALU_DEP_1)
	v_add_f64_e32 v[18:19], v[22:23], v[18:19]
	v_fma_f64 v[22:23], v[70:71], s[2:3], v[102:103]
	s_wait_loadcnt_dscnt 0x0
	v_mul_f64_e32 v[68:69], v[84:85], v[106:107]
	v_mul_f64_e32 v[78:79], v[84:85], v[104:105]
	;; [unrolled: 1-line block ×3, first 2 shown]
	v_add_f64_e32 v[14:15], v[18:19], v[14:15]
	s_delay_alu instid0(VALU_DEP_4) | instskip(NEXT) | instid1(VALU_DEP_4)
	v_fma_f64 v[4:5], v[82:83], v[104:105], v[68:69]
	v_fma_f64 v[6:7], v[82:83], v[106:107], -v[78:79]
	v_add_f64_e32 v[78:79], v[28:29], v[12:13]
	v_add_f64_e32 v[28:29], v[38:39], v[28:29]
	v_mul_f64_e32 v[82:83], s[22:23], v[50:51]
	v_mul_f64_e32 v[106:107], s[22:23], v[58:59]
	s_mov_b32 s23, 0xbfed1bb4
	v_add_f64_e32 v[68:69], v[46:47], v[26:27]
	s_wait_alu 0xfffe
	v_mul_f64_e32 v[32:33], s[22:23], v[64:65]
	v_mul_f64_e32 v[104:105], s[30:31], v[52:53]
	v_fma_f64 v[46:47], v[34:35], s[16:17], v[36:37]
	v_fma_f64 v[36:37], v[34:35], s[16:17], -v[36:37]
	v_mul_f64_e32 v[52:53], s[20:21], v[52:53]
	v_mul_f64_e32 v[50:51], s[24:25], v[50:51]
	v_fma_f64 v[156:157], v[72:73], s[10:11], v[84:85]
	v_fma_f64 v[84:85], v[72:73], s[10:11], -v[84:85]
	v_mul_f64_e32 v[58:59], s[28:29], v[58:59]
	v_add_f64_e64 v[56:57], v[42:43], -v[4:5]
	v_add_f64_e64 v[66:67], v[40:41], -v[6:7]
	v_add_f64_e32 v[40:41], v[40:41], v[6:7]
	v_add_f64_e32 v[42:43], v[42:43], v[4:5]
	;; [unrolled: 1-line block ×3, first 2 shown]
	v_mul_f64_e32 v[28:29], s[22:23], v[54:55]
	v_fma_f64 v[166:167], v[78:79], s[10:11], -v[94:95]
	v_fma_f64 v[94:95], v[78:79], s[10:11], v[94:95]
	v_fma_f64 v[195:196], v[30:31], s[0:1], -v[32:33]
	v_fma_f64 v[26:27], v[72:73], s[14:15], v[104:105]
	;; [unrolled: 2-line block ×3, first 2 shown]
	v_fma_f64 v[197:198], v[72:73], s[16:17], v[52:53]
	v_fma_f64 v[52:53], v[72:73], s[16:17], -v[52:53]
	v_fma_f64 v[64:65], v[70:71], s[0:1], v[82:83]
	v_fma_f64 v[82:83], v[70:71], s[0:1], -v[82:83]
	v_fma_f64 v[18:19], v[68:69], s[0:1], v[100:101]
	v_fma_f64 v[54:55], v[68:69], s[16:17], v[80:81]
	v_fma_f64 v[80:81], v[68:69], s[16:17], -v[80:81]
	v_mul_f64_e32 v[88:89], s[28:29], v[56:57]
	v_mul_f64_e32 v[38:39], s[24:25], v[56:57]
	;; [unrolled: 1-line block ×10, first 2 shown]
	v_add_f64_e32 v[20:21], v[20:21], v[44:45]
	v_fma_f64 v[193:194], v[34:35], s[0:1], v[28:29]
	v_fma_f64 v[28:29], v[34:35], s[0:1], -v[28:29]
	v_fma_f64 v[160:161], v[40:41], s[2:3], v[88:89]
	v_fma_f64 v[173:174], v[40:41], s[10:11], v[38:39]
	v_fma_f64 v[175:176], v[42:43], s[10:11], -v[114:115]
	v_fma_f64 v[38:39], v[40:41], s[10:11], -v[38:39]
	v_fma_f64 v[114:115], v[42:43], s[10:11], v[114:115]
	v_fma_f64 v[171:172], v[42:43], s[2:3], -v[98:99]
	v_fma_f64 v[88:89], v[40:41], s[2:3], -v[88:89]
	v_fma_f64 v[98:99], v[42:43], s[2:3], v[98:99]
	v_fma_f64 v[177:178], v[40:41], s[16:17], v[124:125]
	v_fma_f64 v[179:180], v[42:43], s[16:17], -v[134:135]
	v_fma_f64 v[124:125], v[40:41], s[16:17], -v[124:125]
	v_fma_f64 v[181:182], v[40:41], s[14:15], v[152:153]
	v_fma_f64 v[152:153], v[40:41], s[14:15], -v[152:153]
	v_fma_f64 v[183:184], v[40:41], s[0:1], -v[56:57]
	v_fma_f64 v[185:186], v[42:43], s[0:1], v[154:155]
	v_fma_f64 v[134:135], v[42:43], s[16:17], v[134:135]
	;; [unrolled: 1-line block ×3, first 2 shown]
	v_fma_f64 v[56:57], v[42:43], s[0:1], -v[154:155]
	v_fma_f64 v[44:45], v[42:43], s[14:15], v[66:67]
	v_fma_f64 v[42:43], v[42:43], s[14:15], -v[66:67]
	v_fma_f64 v[66:67], v[30:31], s[16:17], -v[112:113]
	v_fma_f64 v[112:113], v[30:31], s[16:17], v[112:113]
	v_fma_f64 v[30:31], v[30:31], s[0:1], v[32:33]
	;; [unrolled: 1-line block ×3, first 2 shown]
	v_fma_f64 v[122:123], v[34:35], s[2:3], -v[122:123]
	v_add_f64_e32 v[20:21], v[20:21], v[24:25]
	v_add_f64_e32 v[32:33], v[2:3], v[160:161]
	;; [unrolled: 1-line block ×21, first 2 shown]
	v_fma_f64 v[44:45], v[72:73], s[14:15], -v[104:105]
	v_fma_f64 v[56:57], v[78:79], s[14:15], v[110:111]
	v_fma_f64 v[42:43], v[78:79], s[14:15], -v[110:111]
	v_fma_f64 v[104:105], v[72:73], s[0:1], v[120:121]
	v_fma_f64 v[110:111], v[78:79], s[0:1], -v[130:131]
	v_fma_f64 v[120:121], v[72:73], s[0:1], -v[120:121]
	v_fma_f64 v[130:131], v[78:79], s[0:1], v[130:131]
	v_fma_f64 v[183:184], v[72:73], s[2:3], v[140:141]
	v_fma_f64 v[185:186], v[78:79], s[2:3], -v[148:149]
	v_fma_f64 v[140:141], v[72:73], s[2:3], -v[140:141]
	v_fma_f64 v[148:149], v[78:79], s[2:3], v[148:149]
	v_add_f64_e32 v[16:17], v[20:21], v[16:17]
	v_add_f64_e32 v[32:33], v[158:159], v[32:33]
	;; [unrolled: 1-line block ×21, first 2 shown]
	v_fma_f64 v[30:31], v[70:71], s[2:3], -v[102:103]
	v_fma_f64 v[102:103], v[76:77], s[2:3], v[108:109]
	v_fma_f64 v[24:25], v[76:77], s[2:3], -v[108:109]
	v_fma_f64 v[108:109], v[70:71], s[14:15], v[118:119]
	;; [unrolled: 2-line block ×3, first 2 shown]
	v_fma_f64 v[134:135], v[76:77], s[16:17], -v[146:147]
	v_fma_f64 v[138:139], v[70:71], s[16:17], -v[138:139]
	v_fma_f64 v[142:143], v[76:77], s[16:17], v[146:147]
	v_fma_f64 v[146:147], v[70:71], s[10:11], v[50:51]
	v_fma_f64 v[50:51], v[70:71], s[10:11], -v[50:51]
	v_fma_f64 v[124:125], v[76:77], s[14:15], -v[128:129]
	v_fma_f64 v[128:129], v[76:77], s[14:15], v[128:129]
	v_add_f64_e32 v[12:13], v[16:17], v[12:13]
	v_fma_f64 v[150:151], v[76:77], s[10:11], -v[60:61]
	v_fma_f64 v[60:61], v[76:77], s[10:11], v[60:61]
	v_add_f64_e32 v[32:33], v[156:157], v[32:33]
	v_add_f64_e32 v[26:27], v[26:27], v[46:47]
	;; [unrolled: 1-line block ×20, first 2 shown]
	v_fma_f64 v[62:63], v[68:69], s[0:1], -v[100:101]
	v_fma_f64 v[84:85], v[74:75], s[0:1], v[106:107]
	v_fma_f64 v[86:87], v[68:69], s[10:11], v[116:117]
	v_fma_f64 v[94:95], v[68:69], s[10:11], -v[116:117]
	v_fma_f64 v[98:99], v[68:69], s[14:15], v[136:137]
	v_fma_f64 v[104:105], v[68:69], s[14:15], -v[136:137]
	;; [unrolled: 2-line block ×3, first 2 shown]
	v_fma_f64 v[20:21], v[74:75], s[0:1], -v[106:107]
	v_fma_f64 v[88:89], v[74:75], s[10:11], -v[126:127]
	v_fma_f64 v[106:107], v[74:75], s[14:15], v[144:145]
	v_fma_f64 v[96:97], v[74:75], s[10:11], v[126:127]
	v_fma_f64 v[100:101], v[74:75], s[14:15], -v[144:145]
	v_fma_f64 v[112:113], v[74:75], s[2:3], -v[58:59]
	v_fma_f64 v[58:59], v[74:75], s[2:3], v[58:59]
	v_add_f64_e32 v[32:33], v[64:65], v[32:33]
	v_add_f64_e32 v[22:23], v[22:23], v[26:27]
	;; [unrolled: 1-line block ×44, first 2 shown]
	ds_store_b128 v255, v[16:19] offset:10880
	ds_store_b128 v255, v[8:11] offset:13600
	;; [unrolled: 1-line block ×8, first 2 shown]
	ds_store_b128 v255, v[4:7]
	ds_store_b128 v255, v[32:35] offset:2720
	ds_store_b128 v255, v[28:31] offset:27200
.LBB0_21:
	s_wait_alu 0xfffe
	s_or_b32 exec_lo, exec_lo, s18
	global_wb scope:SCOPE_SE
	s_wait_dscnt 0x0
	s_barrier_signal -1
	s_barrier_wait -1
	global_inv scope:SCOPE_SE
	s_and_b32 exec_lo, exec_lo, vcc_lo
	s_cbranch_execz .LBB0_23
; %bb.22:
	global_load_b128 v[0:3], v255, s[8:9]
	ds_load_b128 v[4:7], v255
	ds_load_b128 v[8:11], v255 offset:1760
	ds_load_b128 v[12:15], v255 offset:28160
	s_mov_b32 s0, 0xfa401186
	s_mov_b32 s1, 0x3f4185e2
	s_mul_u64 s[2:3], s[4:5], 0x6e0
	s_wait_loadcnt_dscnt 0x2
	v_mul_f64_e32 v[16:17], v[6:7], v[2:3]
	v_mul_f64_e32 v[2:3], v[4:5], v[2:3]
	s_delay_alu instid0(VALU_DEP_2) | instskip(NEXT) | instid1(VALU_DEP_2)
	v_fma_f64 v[4:5], v[4:5], v[0:1], v[16:17]
	v_fma_f64 v[2:3], v[0:1], v[6:7], -v[2:3]
	scratch_load_b64 v[0:1], off, off th:TH_LOAD_LU ; 8-byte Folded Reload
	v_mad_co_u64_u32 v[16:17], null, s4, v168, 0
	s_wait_alu 0xfffe
	v_mul_f64_e32 v[2:3], s[0:1], v[2:3]
	s_wait_loadcnt 0x0
	v_mov_b32_e32 v18, v0
	v_mul_f64_e32 v[0:1], s[0:1], v[4:5]
	s_delay_alu instid0(VALU_DEP_4) | instskip(NEXT) | instid1(VALU_DEP_3)
	v_mov_b32_e32 v5, v17
	v_mad_co_u64_u32 v[6:7], null, s6, v18, 0
	s_delay_alu instid0(VALU_DEP_1) | instskip(NEXT) | instid1(VALU_DEP_1)
	v_mov_b32_e32 v4, v7
	v_mad_co_u64_u32 v[17:18], null, s7, v18, v[4:5]
	s_delay_alu instid0(VALU_DEP_3) | instskip(NEXT) | instid1(VALU_DEP_2)
	v_mad_co_u64_u32 v[4:5], null, s5, v168, v[5:6]
	v_mov_b32_e32 v7, v17
	s_delay_alu instid0(VALU_DEP_2) | instskip(NEXT) | instid1(VALU_DEP_2)
	v_mov_b32_e32 v17, v4
	v_lshlrev_b64_e32 v[4:5], 4, v[6:7]
	s_delay_alu instid0(VALU_DEP_2) | instskip(NEXT) | instid1(VALU_DEP_2)
	v_lshlrev_b64_e32 v[6:7], 4, v[16:17]
	v_add_co_u32 v4, vcc_lo, s12, v4
	s_delay_alu instid0(VALU_DEP_3) | instskip(NEXT) | instid1(VALU_DEP_2)
	v_add_co_ci_u32_e32 v5, vcc_lo, s13, v5, vcc_lo
	v_add_co_u32 v4, vcc_lo, v4, v6
	s_wait_alu 0xfffd
	s_delay_alu instid0(VALU_DEP_2) | instskip(NEXT) | instid1(VALU_DEP_2)
	v_add_co_ci_u32_e32 v5, vcc_lo, v5, v7, vcc_lo
	v_add_co_u32 v16, vcc_lo, v4, s2
	global_store_b128 v[4:5], v[0:3], off
	global_load_b128 v[0:3], v255, s[8:9] offset:1760
	s_wait_alu 0xfffd
	v_add_co_ci_u32_e32 v17, vcc_lo, s3, v5, vcc_lo
	s_wait_loadcnt_dscnt 0x1
	v_mul_f64_e32 v[6:7], v[10:11], v[2:3]
	v_mul_f64_e32 v[2:3], v[8:9], v[2:3]
	s_delay_alu instid0(VALU_DEP_2) | instskip(NEXT) | instid1(VALU_DEP_2)
	v_fma_f64 v[6:7], v[8:9], v[0:1], v[6:7]
	v_fma_f64 v[2:3], v[0:1], v[10:11], -v[2:3]
	s_delay_alu instid0(VALU_DEP_2) | instskip(NEXT) | instid1(VALU_DEP_2)
	v_mul_f64_e32 v[0:1], s[0:1], v[6:7]
	v_mul_f64_e32 v[2:3], s[0:1], v[2:3]
	global_store_b128 v[16:17], v[0:3], off
	global_load_b128 v[0:3], v255, s[8:9] offset:3520
	ds_load_b128 v[4:7], v255 offset:3520
	ds_load_b128 v[8:11], v255 offset:5280
	s_wait_loadcnt_dscnt 0x1
	v_mul_f64_e32 v[18:19], v[6:7], v[2:3]
	v_mul_f64_e32 v[2:3], v[4:5], v[2:3]
	s_delay_alu instid0(VALU_DEP_2) | instskip(NEXT) | instid1(VALU_DEP_2)
	v_fma_f64 v[4:5], v[4:5], v[0:1], v[18:19]
	v_fma_f64 v[2:3], v[0:1], v[6:7], -v[2:3]
	s_delay_alu instid0(VALU_DEP_2) | instskip(NEXT) | instid1(VALU_DEP_2)
	v_mul_f64_e32 v[0:1], s[0:1], v[4:5]
	v_mul_f64_e32 v[2:3], s[0:1], v[2:3]
	v_add_co_u32 v4, vcc_lo, v16, s2
	s_wait_alu 0xfffd
	v_add_co_ci_u32_e32 v5, vcc_lo, s3, v17, vcc_lo
	s_delay_alu instid0(VALU_DEP_2) | instskip(SKIP_1) | instid1(VALU_DEP_2)
	v_add_co_u32 v16, vcc_lo, v4, s2
	s_wait_alu 0xfffd
	v_add_co_ci_u32_e32 v17, vcc_lo, s3, v5, vcc_lo
	global_store_b128 v[4:5], v[0:3], off
	global_load_b128 v[0:3], v255, s[8:9] offset:5280
	s_wait_loadcnt_dscnt 0x0
	v_mul_f64_e32 v[6:7], v[10:11], v[2:3]
	v_mul_f64_e32 v[2:3], v[8:9], v[2:3]
	s_delay_alu instid0(VALU_DEP_2) | instskip(NEXT) | instid1(VALU_DEP_2)
	v_fma_f64 v[6:7], v[8:9], v[0:1], v[6:7]
	v_fma_f64 v[2:3], v[0:1], v[10:11], -v[2:3]
	s_delay_alu instid0(VALU_DEP_2) | instskip(NEXT) | instid1(VALU_DEP_2)
	v_mul_f64_e32 v[0:1], s[0:1], v[6:7]
	v_mul_f64_e32 v[2:3], s[0:1], v[2:3]
	global_store_b128 v[16:17], v[0:3], off
	global_load_b128 v[0:3], v255, s[8:9] offset:7040
	ds_load_b128 v[4:7], v255 offset:7040
	ds_load_b128 v[8:11], v255 offset:8800
	s_wait_loadcnt_dscnt 0x1
	v_mul_f64_e32 v[18:19], v[6:7], v[2:3]
	v_mul_f64_e32 v[2:3], v[4:5], v[2:3]
	s_delay_alu instid0(VALU_DEP_2) | instskip(NEXT) | instid1(VALU_DEP_2)
	v_fma_f64 v[4:5], v[4:5], v[0:1], v[18:19]
	v_fma_f64 v[2:3], v[0:1], v[6:7], -v[2:3]
	s_delay_alu instid0(VALU_DEP_2) | instskip(NEXT) | instid1(VALU_DEP_2)
	v_mul_f64_e32 v[0:1], s[0:1], v[4:5]
	v_mul_f64_e32 v[2:3], s[0:1], v[2:3]
	v_add_co_u32 v4, vcc_lo, v16, s2
	s_wait_alu 0xfffd
	v_add_co_ci_u32_e32 v5, vcc_lo, s3, v17, vcc_lo
	s_delay_alu instid0(VALU_DEP_2) | instskip(SKIP_1) | instid1(VALU_DEP_2)
	v_add_co_u32 v16, vcc_lo, v4, s2
	s_wait_alu 0xfffd
	v_add_co_ci_u32_e32 v17, vcc_lo, s3, v5, vcc_lo
	global_store_b128 v[4:5], v[0:3], off
	global_load_b128 v[0:3], v255, s[8:9] offset:8800
	;; [unrolled: 31-line block ×6, first 2 shown]
	s_wait_loadcnt_dscnt 0x0
	v_mul_f64_e32 v[6:7], v[10:11], v[2:3]
	v_mul_f64_e32 v[2:3], v[8:9], v[2:3]
	s_delay_alu instid0(VALU_DEP_2) | instskip(NEXT) | instid1(VALU_DEP_2)
	v_fma_f64 v[6:7], v[8:9], v[0:1], v[6:7]
	v_fma_f64 v[2:3], v[0:1], v[10:11], -v[2:3]
	s_delay_alu instid0(VALU_DEP_2) | instskip(NEXT) | instid1(VALU_DEP_2)
	v_mul_f64_e32 v[0:1], s[0:1], v[6:7]
	v_mul_f64_e32 v[2:3], s[0:1], v[2:3]
	global_store_b128 v[16:17], v[0:3], off
	global_load_b128 v[0:3], v255, s[8:9] offset:24640
	ds_load_b128 v[4:7], v255 offset:24640
	ds_load_b128 v[8:11], v255 offset:26400
	s_wait_loadcnt_dscnt 0x1
	v_mul_f64_e32 v[18:19], v[6:7], v[2:3]
	v_mul_f64_e32 v[2:3], v[4:5], v[2:3]
	s_delay_alu instid0(VALU_DEP_2) | instskip(NEXT) | instid1(VALU_DEP_2)
	v_fma_f64 v[4:5], v[4:5], v[0:1], v[18:19]
	v_fma_f64 v[2:3], v[0:1], v[6:7], -v[2:3]
	s_delay_alu instid0(VALU_DEP_2) | instskip(NEXT) | instid1(VALU_DEP_2)
	v_mul_f64_e32 v[0:1], s[0:1], v[4:5]
	v_mul_f64_e32 v[2:3], s[0:1], v[2:3]
	v_add_co_u32 v4, vcc_lo, v16, s2
	s_wait_alu 0xfffd
	v_add_co_ci_u32_e32 v5, vcc_lo, s3, v17, vcc_lo
	global_store_b128 v[4:5], v[0:3], off
	global_load_b128 v[0:3], v255, s[8:9] offset:26400
	v_add_co_u32 v4, vcc_lo, v4, s2
	s_wait_alu 0xfffd
	v_add_co_ci_u32_e32 v5, vcc_lo, s3, v5, vcc_lo
	s_wait_loadcnt_dscnt 0x0
	v_mul_f64_e32 v[6:7], v[10:11], v[2:3]
	v_mul_f64_e32 v[2:3], v[8:9], v[2:3]
	s_delay_alu instid0(VALU_DEP_2) | instskip(NEXT) | instid1(VALU_DEP_2)
	v_fma_f64 v[6:7], v[8:9], v[0:1], v[6:7]
	v_fma_f64 v[2:3], v[0:1], v[10:11], -v[2:3]
	s_delay_alu instid0(VALU_DEP_2) | instskip(NEXT) | instid1(VALU_DEP_2)
	v_mul_f64_e32 v[0:1], s[0:1], v[6:7]
	v_mul_f64_e32 v[2:3], s[0:1], v[2:3]
	global_store_b128 v[4:5], v[0:3], off
	global_load_b128 v[0:3], v255, s[8:9] offset:28160
	v_add_co_u32 v4, vcc_lo, v4, s2
	s_wait_alu 0xfffd
	v_add_co_ci_u32_e32 v5, vcc_lo, s3, v5, vcc_lo
	s_wait_loadcnt 0x0
	v_mul_f64_e32 v[6:7], v[14:15], v[2:3]
	v_mul_f64_e32 v[2:3], v[12:13], v[2:3]
	s_delay_alu instid0(VALU_DEP_2) | instskip(NEXT) | instid1(VALU_DEP_2)
	v_fma_f64 v[6:7], v[12:13], v[0:1], v[6:7]
	v_fma_f64 v[2:3], v[0:1], v[14:15], -v[2:3]
	s_delay_alu instid0(VALU_DEP_2) | instskip(NEXT) | instid1(VALU_DEP_2)
	v_mul_f64_e32 v[0:1], s[0:1], v[6:7]
	v_mul_f64_e32 v[2:3], s[0:1], v[2:3]
	global_store_b128 v[4:5], v[0:3], off
.LBB0_23:
	s_endpgm
	.section	.rodata,"a",@progbits
	.p2align	6, 0x0
	.amdhsa_kernel bluestein_single_back_len1870_dim1_dp_op_CI_CI
		.amdhsa_group_segment_fixed_size 29920
		.amdhsa_private_segment_fixed_size 660
		.amdhsa_kernarg_size 104
		.amdhsa_user_sgpr_count 2
		.amdhsa_user_sgpr_dispatch_ptr 0
		.amdhsa_user_sgpr_queue_ptr 0
		.amdhsa_user_sgpr_kernarg_segment_ptr 1
		.amdhsa_user_sgpr_dispatch_id 0
		.amdhsa_user_sgpr_private_segment_size 0
		.amdhsa_wavefront_size32 1
		.amdhsa_uses_dynamic_stack 0
		.amdhsa_enable_private_segment 1
		.amdhsa_system_sgpr_workgroup_id_x 1
		.amdhsa_system_sgpr_workgroup_id_y 0
		.amdhsa_system_sgpr_workgroup_id_z 0
		.amdhsa_system_sgpr_workgroup_info 0
		.amdhsa_system_vgpr_workitem_id 0
		.amdhsa_next_free_vgpr 256
		.amdhsa_next_free_sgpr 60
		.amdhsa_reserve_vcc 1
		.amdhsa_float_round_mode_32 0
		.amdhsa_float_round_mode_16_64 0
		.amdhsa_float_denorm_mode_32 3
		.amdhsa_float_denorm_mode_16_64 3
		.amdhsa_fp16_overflow 0
		.amdhsa_workgroup_processor_mode 1
		.amdhsa_memory_ordered 1
		.amdhsa_forward_progress 0
		.amdhsa_round_robin_scheduling 0
		.amdhsa_exception_fp_ieee_invalid_op 0
		.amdhsa_exception_fp_denorm_src 0
		.amdhsa_exception_fp_ieee_div_zero 0
		.amdhsa_exception_fp_ieee_overflow 0
		.amdhsa_exception_fp_ieee_underflow 0
		.amdhsa_exception_fp_ieee_inexact 0
		.amdhsa_exception_int_div_zero 0
	.end_amdhsa_kernel
	.text
.Lfunc_end0:
	.size	bluestein_single_back_len1870_dim1_dp_op_CI_CI, .Lfunc_end0-bluestein_single_back_len1870_dim1_dp_op_CI_CI
                                        ; -- End function
	.section	.AMDGPU.csdata,"",@progbits
; Kernel info:
; codeLenInByte = 26088
; NumSgprs: 62
; NumVgprs: 256
; ScratchSize: 660
; MemoryBound: 0
; FloatMode: 240
; IeeeMode: 1
; LDSByteSize: 29920 bytes/workgroup (compile time only)
; SGPRBlocks: 7
; VGPRBlocks: 31
; NumSGPRsForWavesPerEU: 62
; NumVGPRsForWavesPerEU: 256
; Occupancy: 5
; WaveLimiterHint : 1
; COMPUTE_PGM_RSRC2:SCRATCH_EN: 1
; COMPUTE_PGM_RSRC2:USER_SGPR: 2
; COMPUTE_PGM_RSRC2:TRAP_HANDLER: 0
; COMPUTE_PGM_RSRC2:TGID_X_EN: 1
; COMPUTE_PGM_RSRC2:TGID_Y_EN: 0
; COMPUTE_PGM_RSRC2:TGID_Z_EN: 0
; COMPUTE_PGM_RSRC2:TIDIG_COMP_CNT: 0
	.text
	.p2alignl 7, 3214868480
	.fill 96, 4, 3214868480
	.type	__hip_cuid_13cde34df09e2398,@object ; @__hip_cuid_13cde34df09e2398
	.section	.bss,"aw",@nobits
	.globl	__hip_cuid_13cde34df09e2398
__hip_cuid_13cde34df09e2398:
	.byte	0                               ; 0x0
	.size	__hip_cuid_13cde34df09e2398, 1

	.ident	"AMD clang version 19.0.0git (https://github.com/RadeonOpenCompute/llvm-project roc-6.4.0 25133 c7fe45cf4b819c5991fe208aaa96edf142730f1d)"
	.section	".note.GNU-stack","",@progbits
	.addrsig
	.addrsig_sym __hip_cuid_13cde34df09e2398
	.amdgpu_metadata
---
amdhsa.kernels:
  - .args:
      - .actual_access:  read_only
        .address_space:  global
        .offset:         0
        .size:           8
        .value_kind:     global_buffer
      - .actual_access:  read_only
        .address_space:  global
        .offset:         8
        .size:           8
        .value_kind:     global_buffer
      - .actual_access:  read_only
        .address_space:  global
        .offset:         16
        .size:           8
        .value_kind:     global_buffer
      - .actual_access:  read_only
        .address_space:  global
        .offset:         24
        .size:           8
        .value_kind:     global_buffer
      - .actual_access:  read_only
        .address_space:  global
        .offset:         32
        .size:           8
        .value_kind:     global_buffer
      - .offset:         40
        .size:           8
        .value_kind:     by_value
      - .address_space:  global
        .offset:         48
        .size:           8
        .value_kind:     global_buffer
      - .address_space:  global
        .offset:         56
        .size:           8
        .value_kind:     global_buffer
      - .address_space:  global
        .offset:         64
        .size:           8
        .value_kind:     global_buffer
      - .address_space:  global
        .offset:         72
        .size:           8
        .value_kind:     global_buffer
      - .offset:         80
        .size:           4
        .value_kind:     by_value
      - .address_space:  global
        .offset:         88
        .size:           8
        .value_kind:     global_buffer
      - .address_space:  global
        .offset:         96
        .size:           8
        .value_kind:     global_buffer
    .group_segment_fixed_size: 29920
    .kernarg_segment_align: 8
    .kernarg_segment_size: 104
    .language:       OpenCL C
    .language_version:
      - 2
      - 0
    .max_flat_workgroup_size: 187
    .name:           bluestein_single_back_len1870_dim1_dp_op_CI_CI
    .private_segment_fixed_size: 660
    .sgpr_count:     62
    .sgpr_spill_count: 0
    .symbol:         bluestein_single_back_len1870_dim1_dp_op_CI_CI.kd
    .uniform_work_group_size: 1
    .uses_dynamic_stack: false
    .vgpr_count:     256
    .vgpr_spill_count: 206
    .wavefront_size: 32
    .workgroup_processor_mode: 1
amdhsa.target:   amdgcn-amd-amdhsa--gfx1201
amdhsa.version:
  - 1
  - 2
...

	.end_amdgpu_metadata
